;; amdgpu-corpus repo=ROCm/rocFFT kind=compiled arch=gfx950 opt=O3
	.text
	.amdgcn_target "amdgcn-amd-amdhsa--gfx950"
	.amdhsa_code_object_version 6
	.protected	bluestein_single_fwd_len85_dim1_sp_op_CI_CI ; -- Begin function bluestein_single_fwd_len85_dim1_sp_op_CI_CI
	.globl	bluestein_single_fwd_len85_dim1_sp_op_CI_CI
	.p2align	8
	.type	bluestein_single_fwd_len85_dim1_sp_op_CI_CI,@function
bluestein_single_fwd_len85_dim1_sp_op_CI_CI: ; @bluestein_single_fwd_len85_dim1_sp_op_CI_CI
; %bb.0:
	s_load_dwordx4 s[8:11], s[0:1], 0x28
	v_mul_u32_u24_e32 v1, 0xf10, v0
	v_lshrrev_b32_e32 v2, 16, v1
	v_mad_u64_u32 v[4:5], s[2:3], s2, 15, v[2:3]
	v_mov_b32_e32 v5, 0
	s_waitcnt lgkmcnt(0)
	v_cmp_gt_u64_e32 vcc, s[8:9], v[4:5]
	s_and_saveexec_b64 s[2:3], vcc
	s_cbranch_execz .LBB0_15
; %bb.1:
	v_mul_lo_u16_e32 v1, 17, v2
	s_mov_b32 s2, 0x88888889
	v_sub_u16_e32 v225, v0, v1
	v_mul_hi_u32 v0, v4, s2
	s_load_dwordx2 s[8:9], s[0:1], 0x0
	s_load_dwordx2 s[12:13], s[0:1], 0x38
	v_lshrrev_b32_e32 v0, 3, v0
	v_mul_lo_u32 v0, v0, 15
	v_sub_u32_e32 v0, v4, v0
	v_mul_u32_u24_e32 v56, 0x55, v0
	v_or_b32_e32 v0, 40, v225
	v_accvgpr_write_b32 a2, v4
	v_cmp_gt_u16_e32 vcc, 5, v225
	v_lshlrev_b32_e32 v224, 3, v225
	v_lshlrev_b32_e32 v57, 3, v56
	v_accvgpr_write_b32 a1, v0
	s_and_saveexec_b64 s[2:3], vcc
	s_cbranch_execz .LBB0_3
; %bb.2:
	s_load_dwordx2 s[4:5], s[0:1], 0x18
	v_accvgpr_read_b32 v10, a2
	v_mov_b32_e32 v0, s10
	v_mov_b32_e32 v1, s11
	;; [unrolled: 1-line block ×3, first 2 shown]
	s_waitcnt lgkmcnt(0)
	s_load_dwordx4 s[4:7], s[4:5], 0x0
	v_or_b32_e32 v37, 0x50, v225
	s_waitcnt lgkmcnt(0)
	v_mad_u64_u32 v[2:3], s[10:11], s6, v10, 0
	v_mad_u64_u32 v[4:5], s[10:11], s4, v225, 0
	v_mov_b32_e32 v6, v3
	v_mov_b32_e32 v8, v5
	v_mad_u64_u32 v[6:7], s[6:7], s7, v10, v[6:7]
	v_mov_b32_e32 v3, v6
	v_mad_u64_u32 v[6:7], s[6:7], s5, v225, v[8:9]
	v_mov_b32_e32 v5, v6
	v_lshl_add_u64 v[2:3], v[2:3], 3, v[0:1]
	v_lshl_add_u64 v[4:5], v[4:5], 3, v[2:3]
	v_mad_u64_u32 v[24:25], s[6:7], s4, 40, v[4:5]
	s_mul_i32 s6, s5, 40
	s_nop 0
	v_add_u32_e32 v25, s6, v25
	v_mad_u64_u32 v[26:27], s[10:11], s4, 40, v[24:25]
	v_add_u32_e32 v27, s6, v27
	v_mad_u64_u32 v[28:29], s[10:11], s4, 40, v[26:27]
	;; [unrolled: 2-line block ×3, first 2 shown]
	global_load_dwordx2 v[0:1], v[4:5], off
	global_load_dwordx2 v[10:11], v224, s[8:9]
	global_load_dwordx2 v[8:9], v224, s[8:9] offset:40
	global_load_dwordx2 v[6:7], v224, s[8:9] offset:80
	s_nop 0
	global_load_dwordx2 v[4:5], v224, s[8:9] offset:120
	v_add_u32_e32 v31, s6, v31
	global_load_dwordx2 v[20:21], v[24:25], off
	global_load_dwordx2 v[18:19], v[26:27], off
	;; [unrolled: 1-line block ×4, first 2 shown]
	global_load_dwordx2 v[16:17], v224, s[8:9] offset:160
	global_load_dwordx2 v[22:23], v224, s[8:9] offset:200
	;; [unrolled: 1-line block ×4, first 2 shown]
	v_accvgpr_read_b32 v29, a1
	v_mad_u64_u32 v[24:25], s[10:11], s4, v29, 0
	v_mov_b32_e32 v28, v25
	v_mad_u64_u32 v[28:29], s[10:11], s5, v29, v[28:29]
	v_mov_b32_e32 v25, v28
	v_mad_u64_u32 v[28:29], s[10:11], s4, 40, v[30:31]
	v_add_u32_e32 v29, s6, v29
	global_load_dwordx2 v[30:31], v[28:29], off
	v_mad_u64_u32 v[28:29], s[10:11], s4, 40, v[28:29]
	v_lshl_add_u64 v[24:25], v[24:25], 3, v[2:3]
	v_add_u32_e32 v29, s6, v29
	global_load_dwordx2 v[38:39], v[28:29], off
	global_load_dwordx2 v[40:41], v[24:25], off
	v_mad_u64_u32 v[24:25], s[10:11], s4, 40, v[28:29]
	v_add_u32_e32 v25, s6, v25
	s_mul_i32 s7, s5, 0x50
	global_load_dwordx2 v[28:29], v[24:25], off
	v_mad_u64_u32 v[24:25], s[10:11], s4, v42, v[24:25]
	v_add_u32_e32 v25, s7, v25
	global_load_dwordx2 v[42:43], v224, s[8:9] offset:320
	global_load_dwordx2 v[44:45], v[24:25], off
	v_mad_u64_u32 v[24:25], s[10:11], s4, 40, v[24:25]
	v_add_u32_e32 v25, s6, v25
	global_load_dwordx2 v[46:47], v224, s[8:9] offset:360
	;; [unrolled: 4-line block ×3, first 2 shown]
	global_load_dwordx2 v[52:53], v[24:25], off
	global_load_dwordx2 v[54:55], v224, s[8:9] offset:440
	v_mad_u64_u32 v[24:25], s[10:11], s4, 40, v[24:25]
	v_add_u32_e32 v25, s6, v25
	global_load_dwordx2 v[58:59], v[24:25], off
	global_load_dwordx2 v[60:61], v224, s[8:9] offset:480
	v_mad_u64_u32 v[24:25], s[10:11], s4, 40, v[24:25]
	v_mad_u64_u32 v[26:27], s[10:11], s4, v37, 0
	v_add_u32_e32 v25, s6, v25
	v_mov_b32_e32 v36, v27
	global_load_dwordx2 v[62:63], v[24:25], off
	global_load_dwordx2 v[64:65], v224, s[8:9] offset:520
	v_mad_u64_u32 v[24:25], s[10:11], s4, 40, v[24:25]
	v_mad_u64_u32 v[36:37], s[10:11], s5, v37, v[36:37]
	v_add_u32_e32 v25, s6, v25
	global_load_dwordx2 v[66:67], v[24:25], off
	global_load_dwordx2 v[68:69], v224, s[8:9] offset:560
	v_mad_u64_u32 v[24:25], s[4:5], s4, 40, v[24:25]
	v_mov_b32_e32 v27, v36
	v_add_u32_e32 v25, s6, v25
	v_lshl_add_u64 v[2:3], v[26:27], 3, v[2:3]
	global_load_dwordx2 v[70:71], v[24:25], off
	global_load_dwordx2 v[72:73], v224, s[8:9] offset:600
	s_nop 0
	global_load_dwordx2 v[24:25], v[2:3], off
	global_load_dwordx2 v[26:27], v224, s[8:9] offset:640
	v_lshl_add_u32 v36, v225, 3, v57
	v_add_u32_e32 v37, v57, v224
	s_waitcnt vmcnt(32)
	v_mul_f32_e32 v2, v1, v11
	v_mul_f32_e32 v3, v0, v11
	v_fmac_f32_e32 v2, v0, v10
	v_fma_f32 v3, v1, v10, -v3
	ds_write_b64 v36, v[2:3]
	s_waitcnt vmcnt(28)
	v_mul_f32_e32 v0, v21, v9
	v_mul_f32_e32 v1, v20, v9
	s_waitcnt vmcnt(27)
	v_mul_f32_e32 v2, v19, v7
	v_mul_f32_e32 v3, v18, v7
	v_fmac_f32_e32 v0, v20, v8
	v_fma_f32 v1, v21, v8, -v1
	v_fmac_f32_e32 v2, v18, v6
	v_fma_f32 v3, v19, v6, -v3
	ds_write2_b64 v37, v[0:1], v[2:3] offset0:5 offset1:10
	s_waitcnt vmcnt(26)
	v_mul_f32_e32 v0, v15, v5
	v_mul_f32_e32 v1, v14, v5
	s_waitcnt vmcnt(24)
	v_mul_f32_e32 v2, v13, v17
	v_mul_f32_e32 v3, v12, v17
	v_fmac_f32_e32 v0, v14, v4
	v_fma_f32 v1, v15, v4, -v1
	v_fmac_f32_e32 v2, v12, v16
	v_fma_f32 v3, v13, v16, -v3
	ds_write2_b64 v37, v[0:1], v[2:3] offset0:15 offset1:20
	s_waitcnt vmcnt(20)
	v_mul_f32_e32 v0, v31, v23
	v_mul_f32_e32 v1, v30, v23
	s_waitcnt vmcnt(19)
	v_mul_f32_e32 v2, v39, v33
	v_mul_f32_e32 v3, v38, v33
	v_fmac_f32_e32 v0, v30, v22
	v_fma_f32 v1, v31, v22, -v1
	v_fmac_f32_e32 v2, v38, v32
	v_fma_f32 v3, v39, v32, -v3
	ds_write2_b64 v37, v[0:1], v[2:3] offset0:25 offset1:30
	s_waitcnt vmcnt(17)
	v_mul_f32_e32 v0, v29, v35
	v_mul_f32_e32 v1, v28, v35
	s_waitcnt vmcnt(16)
	v_mul_f32_e32 v2, v41, v43
	v_mul_f32_e32 v3, v40, v43
	v_fmac_f32_e32 v0, v28, v34
	v_fma_f32 v1, v29, v34, -v1
	v_fmac_f32_e32 v2, v40, v42
	v_fma_f32 v3, v41, v42, -v3
	ds_write2_b64 v37, v[0:1], v[2:3] offset0:35 offset1:40
	s_waitcnt vmcnt(14)
	v_mul_f32_e32 v0, v45, v47
	v_mul_f32_e32 v1, v44, v47
	s_waitcnt vmcnt(12)
	v_mul_f32_e32 v2, v49, v51
	v_mul_f32_e32 v3, v48, v51
	v_fmac_f32_e32 v0, v44, v46
	v_fma_f32 v1, v45, v46, -v1
	v_fmac_f32_e32 v2, v48, v50
	v_fma_f32 v3, v49, v50, -v3
	ds_write2_b64 v37, v[0:1], v[2:3] offset0:45 offset1:50
	s_waitcnt vmcnt(10)
	v_mul_f32_e32 v0, v53, v55
	v_mul_f32_e32 v1, v52, v55
	s_waitcnt vmcnt(8)
	v_mul_f32_e32 v2, v59, v61
	v_mul_f32_e32 v3, v58, v61
	v_fmac_f32_e32 v0, v52, v54
	v_fma_f32 v1, v53, v54, -v1
	v_fmac_f32_e32 v2, v58, v60
	v_fma_f32 v3, v59, v60, -v3
	ds_write2_b64 v37, v[0:1], v[2:3] offset0:55 offset1:60
	s_waitcnt vmcnt(6)
	v_mul_f32_e32 v0, v63, v65
	v_mul_f32_e32 v1, v62, v65
	s_waitcnt vmcnt(4)
	v_mul_f32_e32 v2, v67, v69
	v_mul_f32_e32 v3, v66, v69
	v_fmac_f32_e32 v0, v62, v64
	v_fma_f32 v1, v63, v64, -v1
	v_fmac_f32_e32 v2, v66, v68
	v_fma_f32 v3, v67, v68, -v3
	ds_write2_b64 v37, v[0:1], v[2:3] offset0:65 offset1:70
	s_waitcnt vmcnt(2)
	v_mul_f32_e32 v0, v71, v73
	v_mul_f32_e32 v1, v70, v73
	s_waitcnt vmcnt(0)
	v_mul_f32_e32 v2, v25, v27
	v_mul_f32_e32 v3, v24, v27
	v_fmac_f32_e32 v0, v70, v72
	v_fma_f32 v1, v71, v72, -v1
	v_fmac_f32_e32 v2, v24, v26
	v_fma_f32 v3, v25, v26, -v3
	ds_write2_b64 v37, v[0:1], v[2:3] offset0:75 offset1:80
.LBB0_3:
	s_or_b64 exec, exec, s[2:3]
	s_load_dwordx2 s[2:3], s[0:1], 0x20
	s_load_dwordx2 s[4:5], s[0:1], 0x8
	v_mov_b32_e32 v0, 0
	v_mov_b32_e32 v1, 0
	s_waitcnt lgkmcnt(0)
	s_barrier
	s_waitcnt lgkmcnt(0)
                                        ; implicit-def: $vgpr4
                                        ; implicit-def: $vgpr10
                                        ; implicit-def: $vgpr12
                                        ; implicit-def: $vgpr18
                                        ; implicit-def: $vgpr52
                                        ; implicit-def: $vgpr22
                                        ; implicit-def: $vgpr30
                                        ; implicit-def: $vgpr26
	s_and_saveexec_b64 s[0:1], vcc
	s_cbranch_execz .LBB0_5
; %bb.4:
	v_lshl_add_u32 v32, v56, 3, v224
	ds_read2_b64 v[0:3], v32 offset1:5
	ds_read2_b64 v[24:27], v32 offset0:10 offset1:15
	ds_read2_b64 v[16:19], v32 offset0:20 offset1:25
	;; [unrolled: 1-line block ×7, first 2 shown]
	ds_read_b64 v[52:53], v32 offset:640
.LBB0_5:
	s_or_b64 exec, exec, s[0:1]
	s_mov_b32 s0, 0xbf2c7751
	s_waitcnt lgkmcnt(0)
	v_pk_add_f32 v[54:55], v[52:53], v[2:3]
	v_pk_add_f32 v[32:33], v[2:3], v[52:53] neg_lo:[0,1] neg_hi:[0,1]
	s_mov_b32 s1, 0x3f3d2fb0
	v_mov_b32_e32 v59, v55
	v_mov_b32_e32 v55, v32
	s_mov_b32 s6, s1
	s_mov_b32 s7, s0
	v_mov_b32_e32 v58, v33
	v_pk_mul_f32 v[32:33], v[54:55], s[6:7]
	s_mov_b32 s6, 0xbf7ee86f
	v_pk_add_f32 v[74:75], v[24:25], v[22:23] neg_lo:[0,1] neg_hi:[0,1]
	v_pk_add_f32 v[72:73], v[24:25], v[22:23]
	s_mov_b32 s7, 0x3dbcf732
	s_mov_b32 s10, 0xbf65296c
	v_mov_b32_e32 v48, v72
	v_mov_b32_e32 v49, v74
	s_mov_b32 s46, s7
	s_mov_b32 s47, s6
	;; [unrolled: 1-line block ×3, first 2 shown]
	v_accvgpr_write_b32 a4, v32
	v_pk_mul_f32 v[34:35], v[48:49], s[46:47]
	s_mov_b32 s14, s11
	s_mov_b32 s15, s10
	v_mov_b32_e32 v68, v75
	v_mov_b32_e32 v69, v73
	v_pk_fma_f32 v[36:37], v[58:59], s[0:1], v[32:33]
	v_accvgpr_write_b32 a5, v33
	v_pk_fma_f32 v[32:33], v[58:59], s[0:1], v[32:33] neg_lo:[0,0,1] neg_hi:[0,0,1]
	v_accvgpr_write_b32 a8, v34
	v_pk_mul_f32 v[88:89], v[54:55], s[14:15]
	s_mov_b32 s14, 0xbf4c4adb
	v_pk_fma_f32 v[38:39], v[68:69], s[6:7], v[34:35]
	v_accvgpr_write_b32 a9, v35
	v_pk_fma_f32 v[34:35], v[68:69], s[6:7], v[34:35] neg_lo:[0,0,1] neg_hi:[0,0,1]
	v_mov_b32_e32 v32, v36
	s_mov_b32 s15, 0xbf1a4643
	v_pk_add_f32 v[32:33], v[32:33], v[0:1]
	v_mov_b32_e32 v34, v38
	s_mov_b32 s16, s15
	s_mov_b32 s17, s14
	v_accvgpr_write_b32 a3, v37
	v_pk_add_f32 v[32:33], v[34:35], v[32:33]
	v_pk_fma_f32 v[36:37], v[58:59], s[10:11], v[88:89]
	v_pk_fma_f32 v[34:35], v[58:59], s[10:11], v[88:89] neg_lo:[0,0,1] neg_hi:[0,0,1]
	v_pk_mul_f32 v[94:95], v[48:49], s[16:17]
	v_accvgpr_write_b32 a7, v39
	v_accvgpr_write_b32 a17, v37
	v_mov_b32_e32 v34, v36
	v_pk_fma_f32 v[38:39], v[68:69], s[14:15], v[94:95]
	v_pk_fma_f32 v[36:37], v[68:69], s[14:15], v[94:95] neg_lo:[0,0,1] neg_hi:[0,0,1]
	v_pk_add_f32 v[34:35], v[34:35], v[0:1]
	v_mov_b32_e32 v36, v38
	v_pk_add_f32 v[110:111], v[26:27], v[20:21] neg_lo:[0,1] neg_hi:[0,1]
	v_pk_add_f32 v[34:35], v[36:37], v[34:35]
	s_mov_b32 s20, s15
	v_pk_add_f32 v[108:109], v[20:21], v[26:27]
	v_pk_mul_f32 v[36:37], v[110:111], s[14:15] op_sel_hi:[1,0]
	v_accvgpr_write_b32 a19, v39
	v_pk_fma_f32 v[38:39], v[108:109], s[20:21], v[36:37] op_sel:[0,0,1] op_sel_hi:[1,0,0]
	v_pk_fma_f32 v[78:79], v[108:109], s[20:21], v[36:37] op_sel:[0,0,1] op_sel_hi:[1,0,0] neg_lo:[0,0,1] neg_hi:[0,0,1]
	v_mov_b32_e32 v36, v38
	v_mov_b32_e32 v37, v79
	s_mov_b32 s18, 0x3e3c28d5
	v_pk_add_f32 v[32:33], v[36:37], v[32:33]
	s_mov_b32 s22, 0xbf7ba420
	v_pk_mul_f32 v[36:37], v[110:111], s[18:19] op_sel_hi:[1,0]
	v_accvgpr_write_b32 a11, v39
	v_pk_fma_f32 v[38:39], v[108:109], s[22:23], v[36:37] op_sel:[0,0,1] op_sel_hi:[1,0,0]
	v_pk_fma_f32 v[70:71], v[108:109], s[22:23], v[36:37] op_sel:[0,0,1] op_sel_hi:[1,0,0] neg_lo:[0,0,1] neg_hi:[0,0,1]
	v_mov_b32_e32 v36, v38
	v_mov_b32_e32 v37, v71
	s_mov_b32 s18, 0xbe3c28d5
	s_mov_b32 s19, s22
	v_pk_add_f32 v[118:119], v[16:17], v[14:15] neg_lo:[0,1] neg_hi:[0,1]
	v_pk_add_f32 v[34:35], v[36:37], v[34:35]
	s_mov_b32 s23, s18
	v_pk_add_f32 v[116:117], v[14:15], v[16:17]
	v_pk_mul_f32 v[36:37], v[118:119], s[18:19] op_sel:[1,0] op_sel_hi:[0,0]
	v_mov_b32_e32 v79, v39
	v_pk_fma_f32 v[38:39], v[116:117], s[22:23], v[36:37] op_sel_hi:[1,0,1]
	v_pk_fma_f32 v[86:87], v[116:117], s[22:23], v[36:37] op_sel_hi:[1,0,1] neg_lo:[0,0,1] neg_hi:[0,0,1]
	v_mov_b32_e32 v36, v38
	v_mov_b32_e32 v37, v87
	s_mov_b32 s30, 0x3f763a35
	v_pk_add_f32 v[32:33], v[36:37], v[32:33]
	s_mov_b32 s26, 0xbe8c1d8e
	v_pk_mul_f32 v[36:37], v[118:119], s[30:31] op_sel:[1,0] op_sel_hi:[0,0]
	v_accvgpr_write_b32 a15, v39
	v_pk_fma_f32 v[38:39], v[116:117], s[26:27], v[36:37] op_sel_hi:[1,0,1]
	v_pk_fma_f32 v[82:83], v[116:117], s[26:27], v[36:37] op_sel_hi:[1,0,1] neg_lo:[0,0,1] neg_hi:[0,0,1]
	v_mov_b32_e32 v36, v38
	v_mov_b32_e32 v37, v83
	s_mov_b32 s56, 0x3f06c442
	v_pk_add_f32 v[150:151], v[18:19], v[12:13] neg_lo:[0,1] neg_hi:[0,1]
	v_pk_add_f32 v[34:35], v[36:37], v[34:35]
	s_mov_b32 s48, 0xbf59a7d5
	v_pk_add_f32 v[50:51], v[12:13], v[18:19]
	v_pk_mul_f32 v[36:37], v[150:151], s[56:57] op_sel:[1,0] op_sel_hi:[0,0]
	v_accvgpr_write_b32 a13, v39
	v_pk_fma_f32 v[38:39], v[50:51], s[48:49], v[36:37] op_sel_hi:[1,0,1]
	v_pk_fma_f32 v[106:107], v[50:51], s[48:49], v[36:37] op_sel_hi:[1,0,1] neg_lo:[0,0,1] neg_hi:[0,0,1]
	v_mov_b32_e32 v36, v38
	v_mov_b32_e32 v37, v107
	s_mov_b32 s24, 0x3f2c7751
	v_pk_add_f32 v[32:33], v[36:37], v[32:33]
	s_mov_b32 s28, s1
	v_pk_mul_f32 v[36:37], v[150:151], s[24:25] op_sel:[1,0] op_sel_hi:[0,0]
	v_mov_b32_e32 v83, v39
	v_pk_fma_f32 v[38:39], v[50:51], s[28:29], v[36:37] op_sel_hi:[1,0,1]
	v_pk_fma_f32 v[102:103], v[50:51], s[28:29], v[36:37] op_sel_hi:[1,0,1] neg_lo:[0,0,1] neg_hi:[0,0,1]
	v_mov_b32_e32 v36, v38
	v_mov_b32_e32 v37, v103
	v_pk_add_f32 v[34:35], v[36:37], v[34:35]
	v_pk_mul_f32 v[36:37], v[110:111], s[30:31] op_sel_hi:[1,0]
	s_mov_b32 s40, 0xbf763a35
	v_pk_fma_f32 v[60:61], v[108:109], s[26:27], v[36:37] op_sel:[0,0,1] op_sel_hi:[1,0,0]
	v_pk_fma_f32 v[98:99], v[108:109], s[26:27], v[36:37] op_sel:[0,0,1] op_sel_hi:[1,0,0] neg_lo:[0,0,1] neg_hi:[0,0,1]
	s_mov_b32 s27, s30
	v_pk_mul_f32 v[36:37], v[150:151], s[40:41] op_sel:[1,0] op_sel_hi:[0,0]
	v_accvgpr_write_b32 a21, v39
	s_mov_b32 s31, s26
	v_pk_fma_f32 v[38:39], v[50:51], s[26:27], v[36:37] op_sel_hi:[1,0,1]
	v_pk_add_f32 v[144:145], v[8:9], v[6:7] neg_lo:[0,1] neg_hi:[0,1]
	v_accvgpr_write_b32 a24, v38
	v_pk_fma_f32 v[114:115], v[50:51], s[26:27], v[36:37] op_sel_hi:[1,0,1] neg_lo:[0,0,1] neg_hi:[0,0,1]
	v_pk_mul_f32 v[44:45], v[48:49], s[26:27]
	s_mov_b32 s27, s40
	v_pk_add_f32 v[142:143], v[6:7], v[8:9]
	v_pk_mul_f32 v[36:37], v[144:145], s[30:31] op_sel:[1,0] op_sel_hi:[0,0]
	v_accvgpr_write_b32 a25, v39
	v_pk_fma_f32 v[38:39], v[142:143], s[26:27], v[36:37] op_sel_hi:[1,0,1]
	v_pk_fma_f32 v[128:129], v[142:143], s[26:27], v[36:37] op_sel_hi:[1,0,1] neg_lo:[0,0,1] neg_hi:[0,0,1]
	s_mov_b32 s34, 0xbeb8f4ab
	v_mov_b32_e32 v36, v38
	v_mov_b32_e32 v37, v129
	s_mov_b32 s35, 0x3f6eb680
	v_pk_add_f32 v[32:33], v[36:37], v[32:33]
	s_mov_b32 s54, s35
	v_pk_mul_f32 v[36:37], v[144:145], s[34:35] op_sel:[1,0] op_sel_hi:[0,0]
	v_mov_b32_e32 v103, v39
	v_pk_fma_f32 v[38:39], v[142:143], s[54:55], v[36:37] op_sel_hi:[1,0,1]
	v_pk_fma_f32 v[122:123], v[142:143], s[54:55], v[36:37] op_sel_hi:[1,0,1] neg_lo:[0,0,1] neg_hi:[0,0,1]
	v_mov_b32_e32 v36, v38
	v_mov_b32_e32 v37, v123
	s_mov_b32 s50, 0x3f65296c
	v_pk_add_f32 v[182:183], v[10:11], v[4:5] neg_lo:[0,1] neg_hi:[0,1]
	v_pk_add_f32 v[34:35], v[36:37], v[34:35]
	s_mov_b32 s42, s11
	v_pk_add_f32 v[180:181], v[4:5], v[10:11]
	v_pk_mul_f32 v[36:37], v[182:183], s[50:51] op_sel:[1,0] op_sel_hi:[0,0]
	v_pk_fma_f32 v[138:139], v[180:181], s[42:43], v[36:37] op_sel_hi:[1,0,1]
	v_pk_fma_f32 v[140:141], v[180:181], s[42:43], v[36:37] op_sel_hi:[1,0,1] neg_lo:[0,0,1] neg_hi:[0,0,1]
	v_mov_b32_e32 v36, v138
	v_mov_b32_e32 v37, v141
	v_pk_add_f32 v[32:33], v[36:37], v[32:33]
	s_mov_b32 s44, s7
	v_pk_mul_f32 v[36:37], v[182:183], s[6:7] op_sel:[1,0] op_sel_hi:[0,0]
	v_pk_fma_f32 v[134:135], v[180:181], s[44:45], v[36:37] op_sel_hi:[1,0,1]
	v_pk_fma_f32 v[136:137], v[180:181], s[44:45], v[36:37] op_sel_hi:[1,0,1] neg_lo:[0,0,1] neg_hi:[0,0,1]
	v_mov_b32_e32 v36, v134
	v_mov_b32_e32 v37, v137
	s_mov_b32 s38, 0xbf06c442
	v_pk_add_f32 v[36:37], v[36:37], v[34:35]
	v_pk_mul_f32 v[34:35], v[118:119], s[38:39] op_sel:[1,0] op_sel_hi:[0,0]
	s_mov_b32 s36, 0x3eb8f4ab
	v_pk_add_f32 v[168:169], v[28:29], v[30:31]
	v_pk_add_f32 v[178:179], v[28:29], v[30:31] neg_lo:[0,1] neg_hi:[0,1]
	v_pk_fma_f32 v[198:199], v[116:117], s[48:49], v[34:35] op_sel_hi:[1,0,1] neg_lo:[0,0,1] neg_hi:[0,0,1]
	v_pk_fma_f32 v[46:47], v[116:117], s[48:49], v[34:35] op_sel_hi:[1,0,1]
	s_mov_b32 s49, s56
	v_pk_mul_f32 v[34:35], v[144:145], s[38:39] op_sel:[1,0] op_sel_hi:[0,0]
	v_mov_b32_e32 v169, v178
	v_pk_add_f32 v[152:153], v[28:29], v[30:31]
	v_pk_fma_f32 v[62:63], v[142:143], s[48:49], v[34:35] op_sel_hi:[1,0,1]
	v_pk_fma_f32 v[132:133], v[142:143], s[48:49], v[34:35] op_sel_hi:[1,0,1] neg_lo:[0,0,1] neg_hi:[0,0,1]
	v_pk_mul_f32 v[34:35], v[182:183], s[38:39] op_sel:[1,0] op_sel_hi:[0,0]
	s_mov_b32 s52, s35
	s_mov_b32 s53, s36
	v_accvgpr_write_b32 a23, v39
	v_mov_b32_e32 v152, v179
	v_pk_fma_f32 v[146:147], v[180:181], s[48:49], v[34:35] op_sel_hi:[1,0,1]
	v_pk_fma_f32 v[148:149], v[180:181], s[48:49], v[34:35] op_sel_hi:[1,0,1] neg_lo:[0,0,1] neg_hi:[0,0,1]
	v_pk_mul_f32 v[38:39], v[118:119], s[36:37] op_sel:[1,0] op_sel_hi:[0,0]
	s_mov_b32 s37, s35
	v_pk_mul_f32 v[34:35], v[110:111], s[38:39] op_sel_hi:[1,0]
	v_pk_mul_f32 v[166:167], v[168:169], s[52:53]
	v_pk_fma_f32 v[196:197], v[108:109], s[48:49], v[34:35] op_sel:[0,0,1] op_sel_hi:[1,0,0] neg_lo:[0,0,1] neg_hi:[0,0,1]
	v_pk_fma_f32 v[194:195], v[108:109], s[48:49], v[34:35] op_sel:[0,0,1] op_sel_hi:[1,0,0]
	v_pk_fma_f32 v[162:163], v[152:153], s[36:37], v[166:167]
	v_pk_fma_f32 v[34:35], v[152:153], s[36:37], v[166:167] neg_lo:[0,0,1] neg_hi:[0,0,1]
	v_pk_mul_f32 v[40:41], v[48:49], s[48:49]
	s_mov_b32 s49, s38
	v_mov_b32_e32 v34, v162
	s_mov_b32 s39, s48
	v_pk_mul_f32 v[156:157], v[168:169], s[48:49]
	v_pk_add_f32 v[34:35], v[34:35], v[32:33]
	v_pk_fma_f32 v[154:155], v[152:153], s[38:39], v[156:157]
	v_pk_fma_f32 v[32:33], v[152:153], s[38:39], v[156:157] neg_lo:[0,0,1] neg_hi:[0,0,1]
	v_pk_mul_f32 v[186:187], v[54:55], s[46:47]
	v_mov_b32_e32 v32, v154
	v_pk_add_f32 v[32:33], v[32:33], v[36:37]
	v_pk_fma_f32 v[184:185], v[58:59], s[6:7], v[186:187]
	v_pk_fma_f32 v[36:37], v[58:59], s[6:7], v[186:187] neg_lo:[0,0,1] neg_hi:[0,0,1]
	v_pk_mul_f32 v[190:191], v[48:49], s[22:23]
	v_mov_b32_e32 v36, v184
	v_pk_fma_f32 v[188:189], v[68:69], s[18:19], v[190:191]
	v_pk_fma_f32 v[42:43], v[68:69], s[18:19], v[190:191] neg_lo:[0,0,1] neg_hi:[0,0,1]
	v_pk_add_f32 v[36:37], v[36:37], v[0:1]
	v_mov_b32_e32 v42, v188
	v_pk_add_f32 v[36:37], v[42:43], v[36:37]
	v_mov_b32_e32 v42, v60
	v_mov_b32_e32 v43, v99
	v_pk_fma_f32 v[192:193], v[116:117], s[54:55], v[38:39] op_sel_hi:[1,0,1]
	v_pk_fma_f32 v[158:159], v[116:117], s[54:55], v[38:39] op_sel_hi:[1,0,1] neg_lo:[0,0,1] neg_hi:[0,0,1]
	v_pk_add_f32 v[36:37], v[42:43], v[36:37]
	v_mov_b32_e32 v38, v192
	v_mov_b32_e32 v39, v159
	v_pk_add_f32 v[36:37], v[38:39], v[36:37]
	v_pk_mul_f32 v[38:39], v[150:151], s[10:11] op_sel:[1,0] op_sel_hi:[0,0]
	v_pk_fma_f32 v[160:161], v[50:51], s[42:43], v[38:39] op_sel_hi:[1,0,1]
	v_pk_fma_f32 v[164:165], v[50:51], s[42:43], v[38:39] op_sel_hi:[1,0,1] neg_lo:[0,0,1] neg_hi:[0,0,1]
	v_mov_b32_e32 v38, v160
	v_mov_b32_e32 v39, v165
	v_pk_add_f32 v[36:37], v[38:39], v[36:37]
	s_mov_b32 s41, s26
	v_pk_mul_f32 v[38:39], v[54:55], s[26:27]
	s_mov_b32 s57, s48
	v_pk_fma_f32 v[200:201], v[58:59], s[40:41], v[38:39] neg_lo:[1,0,0] neg_hi:[1,0,0]
	v_pk_fma_f32 v[42:43], v[58:59], s[40:41], v[38:39]
	v_pk_fma_f32 v[38:39], v[58:59], s[40:41], v[38:39] neg_lo:[0,0,1] neg_hi:[0,0,1]
	v_mov_b32_e32 v201, v43
	v_mov_b32_e32 v43, v39
	v_pk_fma_f32 v[202:203], v[74:75], s[56:57], v[40:41] op_sel:[1,0,0] neg_lo:[1,0,0] neg_hi:[1,0,0]
	v_pk_fma_f32 v[38:39], v[68:69], s[56:57], v[40:41]
	v_pk_fma_f32 v[40:41], v[68:69], s[56:57], v[40:41] neg_lo:[0,0,1] neg_hi:[0,0,1]
	v_mov_b32_e32 v203, v39
	v_mov_b32_e32 v39, v41
	v_pk_add_f32 v[40:41], v[42:43], v[0:1]
	s_mov_b32 s46, 0x3f7ee86f
	v_pk_add_f32 v[38:39], v[38:39], v[40:41]
	v_pk_mul_f32 v[40:41], v[110:111], s[24:25] op_sel_hi:[1,0]
	s_mov_b32 s56, 0x3f4c4adb
	v_pk_fma_f32 v[208:209], v[108:109], s[28:29], v[40:41] op_sel:[0,0,1] op_sel_hi:[1,0,0] neg_lo:[0,0,1] neg_hi:[0,0,1]
	v_pk_fma_f32 v[40:41], v[108:109], s[28:29], v[40:41] op_sel:[0,0,1] op_sel_hi:[1,0,0]
	s_mov_b32 s58, s1
	v_mov_b32_e32 v205, v41
	v_mov_b32_e32 v41, v209
	v_pk_add_f32 v[38:39], v[40:41], v[38:39]
	v_pk_mul_f32 v[40:41], v[118:119], s[10:11] op_sel:[1,0] op_sel_hi:[0,0]
	v_pk_fma_f32 v[212:213], v[116:117], s[42:43], v[40:41] op_sel_hi:[1,0,1] neg_lo:[0,0,1] neg_hi:[0,0,1]
	v_pk_fma_f32 v[40:41], v[116:117], s[42:43], v[40:41] op_sel_hi:[1,0,1]
	s_mov_b32 s59, s24
	v_mov_b32_e32 v209, v41
	v_mov_b32_e32 v41, v213
	v_pk_add_f32 v[38:39], v[40:41], v[38:39]
	v_pk_mul_f32 v[40:41], v[150:151], s[18:19] op_sel:[1,0] op_sel_hi:[0,0]
	v_pk_fma_f32 v[214:215], v[50:51], s[22:23], v[40:41] op_sel_hi:[1,0,1] neg_lo:[0,0,1] neg_hi:[0,0,1]
	v_pk_fma_f32 v[40:41], v[50:51], s[22:23], v[40:41] op_sel_hi:[1,0,1]
	v_pk_mul_f32 v[228:229], v[118:119], s[24:25] op_sel:[1,0] op_sel_hi:[0,0]
	v_mov_b32_e32 v213, v41
	v_mov_b32_e32 v41, v215
	v_pk_add_f32 v[38:39], v[40:41], v[38:39]
	v_mov_b32_e32 v40, v62
	v_mov_b32_e32 v41, v133
	v_pk_add_f32 v[36:37], v[40:41], v[36:37]
	v_pk_mul_f32 v[40:41], v[142:143], s[44:45] op_sel_hi:[1,0]
	s_mov_b32 s25, s1
	v_pk_fma_f32 v[206:207], v[144:145], s[46:47], v[40:41] op_sel:[1,0,0] op_sel_hi:[0,0,1] neg_lo:[1,0,0] neg_hi:[1,0,0]
	v_pk_fma_f32 v[210:211], v[144:145], s[46:47], v[40:41] op_sel:[1,0,0] op_sel_hi:[0,0,1]
	v_mov_b32_e32 v40, v210
	v_mov_b32_e32 v41, v207
	v_pk_add_f32 v[38:39], v[40:41], v[38:39]
	v_pk_mul_f32 v[40:41], v[182:183], s[56:57] op_sel:[1,0] op_sel_hi:[0,0]
	v_pk_fma_f32 v[170:171], v[180:181], s[20:21], v[40:41] op_sel_hi:[1,0,1]
	v_pk_fma_f32 v[172:173], v[180:181], s[20:21], v[40:41] op_sel_hi:[1,0,1] neg_lo:[0,0,1] neg_hi:[0,0,1]
	v_mov_b32_e32 v40, v170
	v_mov_b32_e32 v41, v173
	v_pk_add_f32 v[36:37], v[40:41], v[36:37]
	v_pk_mul_f32 v[40:41], v[180:181], s[54:55] op_sel_hi:[1,0]
	v_pk_mul_f32 v[176:177], v[168:169], s[58:59]
	v_pk_fma_f32 v[216:217], v[182:183], s[34:35], v[40:41] op_sel:[1,0,0] op_sel_hi:[0,0,1] neg_lo:[1,0,0] neg_hi:[1,0,0]
	v_pk_fma_f32 v[218:219], v[182:183], s[34:35], v[40:41] op_sel:[1,0,0] op_sel_hi:[0,0,1]
	v_mov_b32_e32 v40, v218
	v_mov_b32_e32 v41, v217
	v_pk_add_f32 v[40:41], v[40:41], v[38:39]
	v_pk_fma_f32 v[174:175], v[152:153], s[24:25], v[176:177]
	v_pk_fma_f32 v[38:39], v[152:153], s[24:25], v[176:177] neg_lo:[0,0,1] neg_hi:[0,0,1]
	v_pk_mul_f32 v[220:221], v[152:153], s[14:15]
	v_mov_b32_e32 v38, v174
	v_pk_add_f32 v[38:39], v[38:39], v[36:37]
	v_pk_fma_f32 v[222:223], v[168:169], s[16:17], v[220:221]
	v_pk_fma_f32 v[36:37], v[168:169], s[16:17], v[220:221] neg_lo:[1,0,0] neg_hi:[1,0,0]
	v_pk_mul_f32 v[230:231], v[54:55], s[16:17]
	v_mov_b32_e32 v36, v222
	v_pk_add_f32 v[36:37], v[36:37], v[40:41]
	v_pk_fma_f32 v[40:41], v[58:59], s[14:15], v[230:231] neg_lo:[1,0,0] neg_hi:[1,0,0]
	v_pk_fma_f32 v[232:233], v[58:59], s[14:15], v[230:231]
	v_pk_fma_f32 v[42:43], v[74:75], s[30:31], v[44:45] op_sel:[1,0,0] neg_lo:[1,0,0] neg_hi:[1,0,0]
	v_mov_b32_e32 v41, v233
	v_pk_fma_f32 v[234:235], v[68:69], s[30:31], v[44:45]
	v_pk_add_f32 v[40:41], v[40:41], v[0:1]
	v_mov_b32_e32 v43, v235
	v_pk_add_f32 v[40:41], v[42:43], v[40:41]
	v_pk_mul_f32 v[42:43], v[110:111], s[34:35] op_sel_hi:[1,0]
	s_mov_b32 s58, s11
	v_pk_fma_f32 v[236:237], v[108:109], s[54:55], v[42:43] op_sel:[0,0,1] op_sel_hi:[1,0,0] neg_lo:[0,0,1] neg_hi:[0,0,1]
	v_pk_fma_f32 v[238:239], v[108:109], s[54:55], v[42:43] op_sel:[0,0,1] op_sel_hi:[1,0,0]
	v_mov_b32_e32 v42, v236
	v_mov_b32_e32 v43, v239
	v_pk_add_f32 v[40:41], v[42:43], v[40:41]
	v_mov_b32_e32 v42, v198
	v_mov_b32_e32 v43, v47
	v_pk_add_f32 v[40:41], v[42:43], v[40:41]
	v_pk_mul_f32 v[42:43], v[150:151], s[46:47] op_sel:[1,0] op_sel_hi:[0,0]
	v_pk_fma_f32 v[240:241], v[50:51], s[44:45], v[42:43] op_sel_hi:[1,0,1] neg_lo:[0,0,1] neg_hi:[0,0,1]
	v_pk_fma_f32 v[242:243], v[50:51], s[44:45], v[42:43] op_sel_hi:[1,0,1]
	v_mov_b32_e32 v42, v240
	v_mov_b32_e32 v43, v243
	v_pk_add_f32 v[40:41], v[42:43], v[40:41]
	v_pk_mul_f32 v[42:43], v[144:145], s[0:1] op_sel:[1,0] op_sel_hi:[0,0]
	v_pk_fma_f32 v[244:245], v[142:143], s[28:29], v[42:43] op_sel_hi:[1,0,1] neg_lo:[0,0,1] neg_hi:[0,0,1]
	v_pk_fma_f32 v[246:247], v[142:143], s[28:29], v[42:43] op_sel_hi:[1,0,1]
	v_mov_b32_e32 v42, v244
	v_mov_b32_e32 v43, v247
	v_pk_add_f32 v[40:41], v[42:43], v[40:41]
	v_pk_mul_f32 v[42:43], v[182:183], s[18:19] op_sel:[1,0] op_sel_hi:[0,0]
	v_pk_fma_f32 v[248:249], v[180:181], s[22:23], v[42:43] op_sel_hi:[1,0,1]
	v_pk_fma_f32 v[42:43], v[180:181], s[22:23], v[42:43] op_sel_hi:[1,0,1] neg_lo:[0,0,1] neg_hi:[0,0,1]
	s_mov_b32 s59, s50
	v_mov_b32_e32 v251, v43
	v_mov_b32_e32 v43, v249
	v_pk_mul_f32 v[254:255], v[54:55], s[48:49]
	v_mov_b32_e32 v71, v61
	v_pk_add_f32 v[40:41], v[42:43], v[40:41]
	v_pk_mul_f32 v[252:253], v[144:145], s[50:51] op_sel:[1,0] op_sel_hi:[0,0]
	s_mov_b32 s51, s11
	v_pk_fma_f32 v[42:43], v[58:59], s[38:39], v[254:255] neg_lo:[1,0,0] neg_hi:[1,0,0]
	v_pk_fma_f32 v[226:227], v[58:59], s[38:39], v[254:255]
	v_pk_mul_f32 v[60:61], v[48:49], s[58:59]
	v_mov_b32_e32 v43, v227
	v_pk_fma_f32 v[64:65], v[74:75], s[50:51], v[60:61] op_sel:[1,0,0] neg_lo:[1,0,0] neg_hi:[1,0,0]
	v_pk_fma_f32 v[76:77], v[68:69], s[50:51], v[60:61]
	v_pk_add_f32 v[42:43], v[42:43], v[0:1]
	v_mov_b32_e32 v65, v77
	v_pk_add_f32 v[42:43], v[64:65], v[42:43]
	v_pk_mul_f32 v[64:65], v[110:111], s[6:7] op_sel_hi:[1,0]
	v_mov_b32_e32 v215, v63
	v_pk_fma_f32 v[84:85], v[108:109], s[44:45], v[64:65] op_sel:[0,0,1] op_sel_hi:[1,0,0] neg_lo:[0,0,1] neg_hi:[0,0,1]
	v_pk_fma_f32 v[64:65], v[108:109], s[44:45], v[64:65] op_sel:[0,0,1] op_sel_hi:[1,0,0]
	v_mov_b32_e32 v80, v84
	v_mov_b32_e32 v81, v65
	v_pk_add_f32 v[42:43], v[80:81], v[42:43]
	v_pk_mul_f32 v[80:81], v[118:119], s[56:57] op_sel:[1,0] op_sel_hi:[0,0]
	v_pk_fma_f32 v[92:93], v[116:117], s[20:21], v[80:81] op_sel_hi:[1,0,1] neg_lo:[0,0,1] neg_hi:[0,0,1]
	v_pk_fma_f32 v[80:81], v[116:117], s[20:21], v[80:81] op_sel_hi:[1,0,1]
	v_mov_b32_e32 v90, v92
	v_mov_b32_e32 v91, v81
	v_pk_add_f32 v[42:43], v[90:91], v[42:43]
	v_pk_mul_f32 v[90:91], v[150:151], s[34:35] op_sel:[1,0] op_sel_hi:[0,0]
	v_pk_fma_f32 v[100:101], v[50:51], s[54:55], v[90:91] op_sel_hi:[1,0,1] neg_lo:[0,0,1] neg_hi:[0,0,1]
	v_pk_fma_f32 v[90:91], v[50:51], s[54:55], v[90:91] op_sel_hi:[1,0,1]
	;; [unrolled: 6-line block ×4, first 2 shown]
	v_mov_b32_e32 v120, v124
	v_mov_b32_e32 v121, v105
	v_pk_add_f32 v[42:43], v[120:121], v[42:43]
	v_pk_mul_f32 v[120:121], v[168:169], s[58:59]
	v_pk_fma_f32 v[44:45], v[68:69], s[30:31], v[44:45] neg_lo:[0,0,1] neg_hi:[0,0,1]
	v_pk_fma_f32 v[126:127], v[178:179], s[50:51], v[120:121] op_sel:[1,0,0] neg_lo:[1,0,0] neg_hi:[1,0,0]
	v_pk_fma_f32 v[62:63], v[152:153], s[50:51], v[120:121]
	v_mov_b32_e32 v235, v45
	v_mov_b32_e32 v127, v63
	v_pk_add_f32 v[40:41], v[126:127], v[40:41]
	v_pk_mul_f32 v[126:127], v[168:169], s[26:27]
	v_mov_b32_e32 v239, v237
	v_pk_fma_f32 v[66:67], v[178:179], s[40:41], v[126:127] op_sel:[1,0,0] neg_lo:[1,0,0] neg_hi:[1,0,0]
	v_pk_fma_f32 v[130:131], v[152:153], s[40:41], v[126:127]
	v_mov_b32_e32 v47, v199
	v_mov_b32_e32 v67, v131
	v_pk_add_f32 v[42:43], v[66:67], v[42:43]
	v_pk_fma_f32 v[66:67], v[58:59], s[14:15], v[230:231] neg_lo:[0,0,1] neg_hi:[0,0,1]
	v_mov_b32_e32 v65, v85
	v_mov_b32_e32 v233, v67
	v_pk_add_f32 v[44:45], v[232:233], v[0:1]
	v_mov_b32_e32 v81, v93
	v_pk_add_f32 v[44:45], v[234:235], v[44:45]
	;; [unrolled: 2-line block ×3, first 2 shown]
	v_pk_mul_f32 v[66:67], v[54:55], s[22:23]
	v_pk_add_f32 v[44:45], v[46:47], v[44:45]
	v_pk_fma_f32 v[46:47], v[152:153], s[50:51], v[120:121] neg_lo:[0,0,1] neg_hi:[0,0,1]
	v_mov_b32_e32 v243, v241
	v_mov_b32_e32 v63, v47
	v_pk_fma_f32 v[46:47], v[58:59], s[38:39], v[254:255] neg_lo:[0,0,1] neg_hi:[0,0,1]
	v_mov_b32_e32 v97, v113
	v_mov_b32_e32 v227, v47
	v_pk_fma_f32 v[46:47], v[68:69], s[50:51], v[60:61] neg_lo:[0,0,1] neg_hi:[0,0,1]
	v_pk_mul_f32 v[48:49], v[48:49], s[52:53]
	v_mov_b32_e32 v77, v47
	v_pk_add_f32 v[46:47], v[226:227], v[0:1]
	v_pk_add_f32 v[44:45], v[242:243], v[44:45]
	;; [unrolled: 1-line block ×3, first 2 shown]
	v_pk_fma_f32 v[76:77], v[58:59], s[18:19], v[66:67] neg_lo:[1,0,0] neg_hi:[1,0,0]
	v_pk_add_f32 v[46:47], v[64:65], v[46:47]
	v_mov_b32_e32 v247, v245
	v_pk_add_f32 v[46:47], v[80:81], v[46:47]
	v_pk_fma_f32 v[80:81], v[58:59], s[18:19], v[66:67]
	v_pk_add_f32 v[46:47], v[90:91], v[46:47]
	v_mov_b32_e32 v105, v125
	v_pk_add_f32 v[46:47], v[96:97], v[46:47]
	v_mov_b32_e32 v77, v81
	v_pk_fma_f32 v[84:85], v[74:75], s[36:37], v[48:49] op_sel:[1,0,0] neg_lo:[1,0,0] neg_hi:[1,0,0]
	v_pk_fma_f32 v[90:91], v[68:69], s[36:37], v[48:49]
	v_pk_add_f32 v[44:45], v[246:247], v[44:45]
	v_mov_b32_e32 v250, v248
	v_pk_add_f32 v[60:61], v[104:105], v[46:47]
	v_pk_fma_f32 v[46:47], v[152:153], s[40:41], v[126:127] neg_lo:[0,0,1] neg_hi:[0,0,1]
	v_mov_b32_e32 v85, v91
	v_pk_add_f32 v[76:77], v[76:77], v[0:1]
	v_pk_fma_f32 v[66:67], v[58:59], s[18:19], v[66:67] neg_lo:[0,0,1] neg_hi:[0,0,1]
	v_pk_add_f32 v[44:45], v[250:251], v[44:45]
	v_mov_b32_e32 v131, v47
	v_pk_add_f32 v[76:77], v[84:85], v[76:77]
	v_mov_b32_e32 v84, v196
	v_mov_b32_e32 v85, v195
	;; [unrolled: 1-line block ×3, first 2 shown]
	v_pk_fma_f32 v[48:49], v[68:69], s[36:37], v[48:49] neg_lo:[0,0,1] neg_hi:[0,0,1]
	v_pk_add_f32 v[46:47], v[62:63], v[44:45]
	v_pk_add_f32 v[44:45], v[130:131], v[60:61]
	v_pk_mul_f32 v[60:61], v[150:151], s[14:15] op_sel:[1,0] op_sel_hi:[0,0]
	v_pk_add_f32 v[76:77], v[84:85], v[76:77]
	v_pk_fma_f32 v[84:85], v[116:117], s[28:29], v[228:229] op_sel_hi:[1,0,1] neg_lo:[0,0,1] neg_hi:[0,0,1]
	v_pk_fma_f32 v[92:93], v[116:117], s[28:29], v[228:229] op_sel_hi:[1,0,1]
	v_mov_b32_e32 v91, v49
	v_pk_add_f32 v[48:49], v[80:81], v[0:1]
	v_pk_fma_f32 v[62:63], v[50:51], s[20:21], v[60:61] op_sel_hi:[1,0,1] neg_lo:[0,0,1] neg_hi:[0,0,1]
	v_pk_fma_f32 v[50:51], v[50:51], s[20:21], v[60:61] op_sel_hi:[1,0,1]
	v_mov_b32_e32 v96, v84
	v_mov_b32_e32 v97, v93
	;; [unrolled: 1-line block ×3, first 2 shown]
	v_pk_add_f32 v[48:49], v[90:91], v[48:49]
	v_pk_add_f32 v[76:77], v[96:97], v[76:77]
	v_mov_b32_e32 v96, v62
	v_mov_b32_e32 v97, v51
	;; [unrolled: 1-line block ×3, first 2 shown]
	v_pk_add_f32 v[48:49], v[194:195], v[48:49]
	v_pk_mul_f32 v[60:61], v[182:183], s[40:41] op_sel:[1,0] op_sel_hi:[0,0]
	v_pk_add_f32 v[76:77], v[96:97], v[76:77]
	v_pk_fma_f32 v[96:97], v[142:143], s[42:43], v[252:253] op_sel_hi:[1,0,1] neg_lo:[0,0,1] neg_hi:[0,0,1]
	v_pk_fma_f32 v[100:101], v[142:143], s[42:43], v[252:253] op_sel_hi:[1,0,1]
	v_mov_b32_e32 v51, v63
	v_pk_add_f32 v[48:49], v[92:93], v[48:49]
	v_pk_fma_f32 v[64:65], v[180:181], s[26:27], v[60:61] op_sel_hi:[1,0,1] neg_lo:[0,0,1] neg_hi:[0,0,1]
	v_pk_fma_f32 v[60:61], v[180:181], s[26:27], v[60:61] op_sel_hi:[1,0,1]
	v_mov_b32_e32 v105, v101
	v_mov_b32_e32 v101, v97
	v_pk_add_f32 v[48:49], v[50:51], v[48:49]
	v_mov_b32_e32 v51, v61
	v_pk_add_f32 v[48:49], v[100:101], v[48:49]
	v_mov_b32_e32 v61, v65
	s_mov_b32 s26, s7
	s_mov_b32 s27, s46
	v_mov_b32_e32 v104, v96
	v_pk_add_f32 v[60:61], v[60:61], v[48:49]
	s_mov_b32 s47, s7
	v_pk_mul_f32 v[48:49], v[168:169], s[26:27]
	v_pk_add_f32 v[76:77], v[104:105], v[76:77]
	v_mov_b32_e32 v50, v64
	v_pk_fma_f32 v[62:63], v[178:179], s[46:47], v[48:49] op_sel:[1,0,0] neg_lo:[1,0,0] neg_hi:[1,0,0]
	v_pk_fma_f32 v[64:65], v[152:153], s[46:47], v[48:49]
	v_pk_fma_f32 v[48:49], v[152:153], s[46:47], v[48:49] neg_lo:[0,0,1] neg_hi:[0,0,1]
	s_mov_b32 s26, s35
	s_mov_b32 s27, s34
	v_pk_add_f32 v[50:51], v[50:51], v[76:77]
	v_mov_b32_e32 v63, v65
	v_mov_b32_e32 v65, v49
	v_pk_mul_f32 v[194:195], v[54:55], s[26:27]
	v_pk_add_f32 v[48:49], v[62:63], v[50:51]
	v_pk_add_f32 v[50:51], v[64:65], v[60:61]
	v_pk_mul_f32 v[60:61], v[74:75], s[0:1] op_sel:[1,0] op_sel_hi:[0,0]
	v_pk_fma_f32 v[180:181], v[58:59], s[34:35], v[194:195]
	v_pk_fma_f32 v[54:55], v[58:59], s[34:35], v[194:195] neg_lo:[0,0,1] neg_hi:[0,0,1]
	v_pk_fma_f32 v[74:75], v[72:73], s[28:29], v[60:61] op_sel_hi:[1,0,1]
	v_pk_fma_f32 v[150:151], v[72:73], s[28:29], v[60:61] op_sel_hi:[1,0,1] neg_lo:[0,0,1] neg_hi:[0,0,1]
	v_mov_b32_e32 v54, v180
	v_pk_add_f32 v[54:55], v[54:55], v[0:1]
	v_mov_b32_e32 v60, v74
	v_mov_b32_e32 v61, v151
	v_pk_add_f32 v[54:55], v[60:61], v[54:55]
	v_pk_mul_f32 v[60:61], v[110:111], s[10:11] op_sel_hi:[1,0]
	v_accvgpr_read_b32 v101, a25
	v_pk_fma_f32 v[110:111], v[108:109], s[42:43], v[60:61] op_sel:[0,0,1] op_sel_hi:[1,0,0]
	v_pk_fma_f32 v[108:109], v[108:109], s[42:43], v[60:61] op_sel:[0,0,1] op_sel_hi:[1,0,0] neg_lo:[0,0,1] neg_hi:[0,0,1]
	v_mov_b32_e32 v60, v110
	v_mov_b32_e32 v61, v109
	v_pk_add_f32 v[54:55], v[60:61], v[54:55]
	v_pk_mul_f32 v[60:61], v[118:119], s[6:7] op_sel:[1,0] op_sel_hi:[0,0]
	v_pk_fma_f32 v[118:119], v[116:117], s[44:45], v[60:61] op_sel_hi:[1,0,1]
	v_pk_fma_f32 v[116:117], v[116:117], s[44:45], v[60:61] op_sel_hi:[1,0,1] neg_lo:[0,0,1] neg_hi:[0,0,1]
	v_accvgpr_read_b32 v100, a24
	v_mov_b32_e32 v60, v118
	v_mov_b32_e32 v61, v117
	v_pk_add_f32 v[54:55], v[60:61], v[54:55]
	v_mov_b32_e32 v60, v100
	v_mov_b32_e32 v61, v115
	v_pk_mul_f32 v[62:63], v[144:145], s[14:15] op_sel:[1,0] op_sel_hi:[0,0]
	v_pk_add_f32 v[54:55], v[60:61], v[54:55]
	v_pk_add_f32 v[60:61], v[200:201], v[0:1]
	v_pk_fma_f32 v[144:145], v[142:143], s[20:21], v[62:63] op_sel_hi:[1,0,1]
	v_pk_fma_f32 v[142:143], v[142:143], s[20:21], v[62:63] op_sel_hi:[1,0,1] neg_lo:[0,0,1] neg_hi:[0,0,1]
	v_mov_b32_e32 v204, v208
	v_pk_add_f32 v[60:61], v[202:203], v[60:61]
	v_mov_b32_e32 v62, v144
	v_mov_b32_e32 v63, v143
	;; [unrolled: 1-line block ×3, first 2 shown]
	v_pk_add_f32 v[60:61], v[204:205], v[60:61]
	v_pk_add_f32 v[54:55], v[62:63], v[54:55]
	v_mov_b32_e32 v62, v146
	v_mov_b32_e32 v63, v149
	v_pk_mul_f32 v[182:183], v[168:169], s[22:23]
	v_mov_b32_e32 v212, v214
	v_pk_add_f32 v[60:61], v[208:209], v[60:61]
	v_pk_add_f32 v[54:55], v[62:63], v[54:55]
	v_pk_fma_f32 v[178:179], v[152:153], s[18:19], v[182:183]
	v_pk_fma_f32 v[62:63], v[152:153], s[18:19], v[182:183] neg_lo:[0,0,1] neg_hi:[0,0,1]
	v_pk_add_f32 v[60:61], v[212:213], v[60:61]
	v_mov_b32_e32 v62, v178
	v_mov_b32_e32 v207, v211
	v_pk_add_f32 v[72:73], v[62:63], v[54:55]
	v_pk_add_f32 v[54:55], v[206:207], v[60:61]
	v_mov_b32_e32 v217, v219
	v_pk_fma_f32 v[60:61], v[168:169], s[16:17], v[220:221] neg_lo:[0,0,1] neg_hi:[0,0,1]
	v_pk_add_f32 v[54:55], v[216:217], v[54:55]
	v_mov_b32_e32 v61, v223
	v_pk_add_f32 v[54:55], v[60:61], v[54:55]
	v_mul_lo_u16_e32 v60, 17, v225
	s_barrier
	s_and_saveexec_b64 s[16:17], vcc
	s_cbranch_execz .LBB0_7
; %bb.6:
	v_pk_add_f32 v[2:3], v[2:3], v[0:1]
	v_pk_mul_f32 v[62:63], v[58:59], s[34:35]
	v_pk_add_f32 v[2:3], v[24:25], v[2:3]
	v_pk_add_f32 v[62:63], v[194:195], v[62:63] neg_lo:[0,1] neg_hi:[0,1]
	v_pk_add_f32 v[2:3], v[26:27], v[2:3]
	v_mov_b32_e32 v63, v181
	v_pk_add_f32 v[2:3], v[16:17], v[2:3]
	v_mov_b32_e32 v151, v75
	;; [unrolled: 2-line block ×3, first 2 shown]
	v_pk_add_f32 v[2:3], v[8:9], v[2:3]
	v_pk_mul_f32 v[76:77], v[58:59], s[10:11]
	v_pk_add_f32 v[2:3], v[10:11], v[2:3]
	v_mov_b32_e32 v117, v119
	v_pk_add_f32 v[2:3], v[28:29], v[2:3]
	v_pk_add_f32 v[76:77], v[88:89], v[76:77] neg_lo:[0,1] neg_hi:[0,1]
	v_pk_add_f32 v[2:3], v[30:31], v[2:3]
	v_accvgpr_read_b32 v89, a5
	v_pk_add_f32 v[2:3], v[4:5], v[2:3]
	v_pk_add_f32 v[4:5], v[62:63], v[0:1]
	;; [unrolled: 1-line block ×6, first 2 shown]
	v_mov_b32_e32 v115, v101
	v_pk_add_f32 v[4:5], v[116:117], v[4:5]
	v_pk_mul_f32 v[64:65], v[58:59], s[0:1]
	v_pk_mul_f32 v[84:85], v[152:153], s[18:19]
	v_accvgpr_read_b32 v88, a4
	v_pk_add_f32 v[2:3], v[14:15], v[2:3]
	v_pk_add_f32 v[4:5], v[114:115], v[4:5]
	v_mov_b32_e32 v143, v145
	v_pk_add_f32 v[64:65], v[88:89], v[64:65] neg_lo:[0,1] neg_hi:[0,1]
	v_accvgpr_read_b32 v89, a9
	v_pk_add_f32 v[2:3], v[20:21], v[2:3]
	v_pk_add_f32 v[4:5], v[142:143], v[4:5]
	v_mov_b32_e32 v149, v147
	v_pk_add_f32 v[6:7], v[182:183], v[84:85] neg_lo:[0,1] neg_hi:[0,1]
	v_pk_mul_f32 v[66:67], v[68:69], s[6:7]
	v_accvgpr_read_b32 v88, a8
	v_pk_add_f32 v[2:3], v[22:23], v[2:3]
	v_pk_add_f32 v[4:5], v[148:149], v[4:5]
	v_mov_b32_e32 v7, v179
	v_accvgpr_read_b32 v65, a3
	v_pk_add_f32 v[66:67], v[88:89], v[66:67] neg_lo:[0,1] neg_hi:[0,1]
	v_add_lshl_u32 v16, v56, v60, 3
	v_pk_add_f32 v[2:3], v[52:53], v[2:3]
	v_pk_add_f32 v[4:5], v[6:7], v[4:5]
	v_accvgpr_read_b32 v67, a7
	ds_write2_b64 v16, v[2:3], v[4:5] offset1:1
	v_pk_add_f32 v[2:3], v[64:65], v[0:1]
	v_mov_b32_e32 v99, v71
	v_mov_b32_e32 v71, v79
	v_pk_add_f32 v[2:3], v[66:67], v[2:3]
	v_accvgpr_read_b32 v79, a11
	v_pk_add_f32 v[2:3], v[78:79], v[2:3]
	v_accvgpr_read_b32 v87, a15
	v_pk_add_f32 v[2:3], v[86:87], v[2:3]
	v_mov_b32_e32 v107, v83
	v_pk_mul_f32 v[90:91], v[152:153], s[36:37]
	v_pk_add_f32 v[2:3], v[106:107], v[2:3]
	v_mov_b32_e32 v129, v103
	v_pk_mul_f32 v[80:81], v[68:69], s[14:15]
	v_pk_add_f32 v[2:3], v[128:129], v[2:3]
	v_mov_b32_e32 v141, v139
	v_pk_add_f32 v[4:5], v[166:167], v[90:91] neg_lo:[0,1] neg_hi:[0,1]
	v_accvgpr_read_b32 v77, a17
	v_pk_add_f32 v[80:81], v[94:95], v[80:81] neg_lo:[0,1] neg_hi:[0,1]
	v_pk_add_f32 v[2:3], v[140:141], v[2:3]
	v_mov_b32_e32 v5, v163
	v_pk_mul_f32 v[58:59], v[58:59], s[6:7]
	v_accvgpr_read_b32 v81, a19
	v_pk_add_f32 v[2:3], v[4:5], v[2:3]
	v_pk_add_f32 v[4:5], v[76:77], v[0:1]
	v_pk_mul_f32 v[68:69], v[68:69], s[18:19]
	v_pk_add_f32 v[58:59], v[186:187], v[58:59] neg_lo:[0,1] neg_hi:[0,1]
	v_pk_add_f32 v[4:5], v[80:81], v[4:5]
	v_mov_b32_e32 v59, v185
	v_pk_add_f32 v[68:69], v[190:191], v[68:69] neg_lo:[0,1] neg_hi:[0,1]
	v_pk_add_f32 v[4:5], v[70:71], v[4:5]
	v_accvgpr_read_b32 v83, a13
	v_mov_b32_e32 v69, v189
	v_pk_add_f32 v[4:5], v[82:83], v[4:5]
	v_accvgpr_read_b32 v103, a21
	v_pk_add_f32 v[0:1], v[58:59], v[0:1]
	v_pk_mul_f32 v[92:93], v[152:153], s[38:39]
	v_pk_add_f32 v[4:5], v[102:103], v[4:5]
	v_accvgpr_read_b32 v123, a23
	v_pk_add_f32 v[0:1], v[68:69], v[0:1]
	v_mov_b32_e32 v159, v193
	v_pk_add_f32 v[4:5], v[122:123], v[4:5]
	v_mov_b32_e32 v137, v135
	v_pk_add_f32 v[6:7], v[156:157], v[92:93] neg_lo:[0,1] neg_hi:[0,1]
	v_pk_add_f32 v[0:1], v[98:99], v[0:1]
	v_pk_add_f32 v[4:5], v[136:137], v[4:5]
	v_mov_b32_e32 v7, v155
	v_pk_add_f32 v[0:1], v[158:159], v[0:1]
	v_mov_b32_e32 v165, v161
	v_pk_mul_f32 v[96:97], v[152:153], s[24:25]
	v_pk_add_f32 v[4:5], v[6:7], v[4:5]
	v_pk_add_f32 v[0:1], v[164:165], v[0:1]
	v_mov_b32_e32 v133, v215
	ds_write2_b64 v16, v[2:3], v[4:5] offset0:2 offset1:3
	v_pk_add_f32 v[0:1], v[132:133], v[0:1]
	v_mov_b32_e32 v173, v171
	v_pk_add_f32 v[2:3], v[176:177], v[96:97] neg_lo:[0,1] neg_hi:[0,1]
	v_pk_add_f32 v[0:1], v[172:173], v[0:1]
	v_mov_b32_e32 v3, v175
	v_pk_add_f32 v[0:1], v[2:3], v[0:1]
	ds_write2_b64 v16, v[0:1], v[54:55] offset0:4 offset1:5
	ds_write2_b64 v16, v[40:41], v[42:43] offset0:6 offset1:7
	;; [unrolled: 1-line block ×6, first 2 shown]
	ds_write_b64 v16, v[72:73] offset:128
.LBB0_7:
	s_or_b64 exec, exec, s[16:17]
	v_lshlrev_b32_e32 v8, 5, v225
	s_load_dwordx4 s[0:3], s[2:3], 0x0
	s_waitcnt lgkmcnt(0)
	s_barrier
	global_load_dwordx4 v[4:7], v8, s[4:5]
	global_load_dwordx4 v[0:3], v8, s[4:5] offset:16
	v_add_lshl_u32 v213, v56, v225, 3
	ds_read2_b64 v[8:11], v213 offset1:17
	ds_read2_b64 v[12:15], v213 offset0:34 offset1:51
	ds_read_b64 v[16:17], v213 offset:544
	s_mov_b32 s6, 0x3f737871
	s_mov_b32 s10, 0x3f167918
	s_mov_b32 s4, 0x3e9e377a
	v_lshl_add_u32 v212, v225, 3, v57
	s_waitcnt vmcnt(1) lgkmcnt(2)
	v_pk_mul_f32 v[18:19], v[10:11], v[4:5] op_sel:[0,1]
	v_mov_b32_e32 v20, v7
	s_waitcnt vmcnt(0) lgkmcnt(1)
	v_pk_mul_f32 v[22:23], v[14:15], v[0:1] op_sel:[0,1]
	v_mov_b32_e32 v24, v3
	v_pk_fma_f32 v[26:27], v[10:11], v[4:5], v[18:19] op_sel:[0,0,1] op_sel_hi:[1,1,0] neg_lo:[0,0,1] neg_hi:[0,0,1]
	v_pk_fma_f32 v[10:11], v[10:11], v[4:5], v[18:19] op_sel:[0,0,1] op_sel_hi:[1,0,0]
	v_pk_mul_f32 v[18:19], v[12:13], v[20:21] op_sel_hi:[1,0]
	v_pk_fma_f32 v[20:21], v[14:15], v[0:1], v[22:23] op_sel:[0,0,1] op_sel_hi:[1,1,0] neg_lo:[0,0,1] neg_hi:[0,0,1]
	v_pk_fma_f32 v[14:15], v[14:15], v[0:1], v[22:23] op_sel:[0,0,1] op_sel_hi:[1,0,0]
	s_waitcnt lgkmcnt(0)
	v_pk_mul_f32 v[22:23], v[16:17], v[24:25] op_sel_hi:[1,0]
	v_mov_b32_e32 v27, v11
	v_pk_fma_f32 v[10:11], v[12:13], v[6:7], v[18:19] op_sel:[0,0,1] op_sel_hi:[1,1,0] neg_lo:[0,0,1] neg_hi:[0,0,1]
	v_pk_fma_f32 v[12:13], v[12:13], v[6:7], v[18:19] op_sel:[0,0,1] op_sel_hi:[1,0,0]
	v_mov_b32_e32 v21, v15
	v_pk_fma_f32 v[14:15], v[16:17], v[2:3], v[22:23] op_sel:[0,0,1] op_sel_hi:[1,1,0] neg_lo:[0,0,1] neg_hi:[0,0,1]
	v_pk_fma_f32 v[16:17], v[16:17], v[2:3], v[22:23] op_sel:[0,0,1] op_sel_hi:[1,0,0]
	v_mov_b32_e32 v11, v13
	v_mov_b32_e32 v15, v17
	v_pk_add_f32 v[12:13], v[8:9], v[26:27]
	v_pk_add_f32 v[16:17], v[10:11], v[20:21]
	;; [unrolled: 1-line block ×3, first 2 shown]
	v_pk_add_f32 v[18:19], v[26:27], v[10:11] neg_lo:[0,1] neg_hi:[0,1]
	v_pk_add_f32 v[28:29], v[10:11], v[26:27] neg_lo:[0,1] neg_hi:[0,1]
	v_pk_add_f32 v[26:27], v[26:27], v[14:15] neg_lo:[0,1] neg_hi:[0,1]
	v_pk_add_f32 v[52:53], v[10:11], v[20:21] neg_lo:[0,1] neg_hi:[0,1]
	v_pk_add_f32 v[10:11], v[12:13], v[10:11]
	v_pk_fma_f32 v[12:13], v[16:17], 0.5, v[8:9] op_sel_hi:[1,0,1] neg_lo:[1,0,0] neg_hi:[1,0,0]
	v_pk_fma_f32 v[8:9], v[24:25], 0.5, v[8:9] op_sel_hi:[1,0,1] neg_lo:[1,0,0] neg_hi:[1,0,0]
	v_pk_add_f32 v[22:23], v[14:15], v[20:21] neg_lo:[0,1] neg_hi:[0,1]
	v_pk_add_f32 v[30:31], v[20:21], v[14:15] neg_lo:[0,1] neg_hi:[0,1]
	v_pk_add_f32 v[10:11], v[10:11], v[20:21]
	v_pk_fma_f32 v[16:17], v[26:27], s[6:7], v[12:13] op_sel:[1,0,0] op_sel_hi:[0,0,1] neg_lo:[1,0,0] neg_hi:[1,0,0]
	v_pk_fma_f32 v[20:21], v[52:53], s[6:7], v[8:9] op_sel:[1,0,0] op_sel_hi:[0,0,1]
	v_pk_fma_f32 v[12:13], v[26:27], s[6:7], v[12:13] op_sel:[1,0,0] op_sel_hi:[0,0,1]
	v_pk_fma_f32 v[24:25], v[52:53], s[6:7], v[8:9] op_sel:[1,0,0] op_sel_hi:[0,0,1] neg_lo:[1,0,0] neg_hi:[1,0,0]
	v_pk_add_f32 v[8:9], v[10:11], v[14:15]
	v_pk_fma_f32 v[14:15], v[52:53], s[10:11], v[16:17] op_sel:[1,0,0] op_sel_hi:[0,0,1] neg_lo:[1,0,0] neg_hi:[1,0,0]
	v_pk_fma_f32 v[16:17], v[26:27], s[10:11], v[20:21] op_sel:[1,0,0] op_sel_hi:[0,0,1] neg_lo:[1,0,0] neg_hi:[1,0,0]
	v_pk_fma_f32 v[10:11], v[52:53], s[10:11], v[12:13] op_sel:[1,0,0] op_sel_hi:[0,0,1]
	v_pk_fma_f32 v[12:13], v[26:27], s[10:11], v[24:25] op_sel:[1,0,0] op_sel_hi:[0,0,1]
	v_pk_add_f32 v[18:19], v[18:19], v[22:23]
	v_pk_add_f32 v[22:23], v[28:29], v[30:31]
	v_mov_b32_e32 v20, v10
	v_mov_b32_e32 v21, v15
	v_mov_b32_e32 v24, v12
	v_mov_b32_e32 v25, v17
	v_mov_b32_e32 v15, v11
	v_mov_b32_e32 v17, v13
	v_pk_fma_f32 v[12:13], v[22:23], s[4:5], v[24:25] op_sel_hi:[1,0,1]
	v_pk_fma_f32 v[10:11], v[18:19], s[4:5], v[20:21] op_sel_hi:[1,0,1]
	;; [unrolled: 1-line block ×4, first 2 shown]
	ds_write2_b64 v212, v[8:9], v[10:11] offset1:17
	ds_write2_b64 v212, v[12:13], v[14:15] offset0:34 offset1:51
	ds_write_b64 v212, v[52:53] offset:544
	s_waitcnt lgkmcnt(0)
	s_barrier
	s_and_saveexec_b64 s[4:5], vcc
	s_cbranch_execz .LBB0_9
; %bb.8:
	global_load_dwordx2 v[58:59], v224, s[8:9] offset:680
	s_add_u32 s6, s8, 0x2a8
	s_addc_u32 s7, s9, 0
	global_load_dwordx2 v[70:71], v224, s[6:7] offset:40
	global_load_dwordx2 v[78:79], v224, s[6:7] offset:80
	;; [unrolled: 1-line block ×15, first 2 shown]
	ds_read2_b64 v[16:19], v212 offset1:5
	ds_read2_b64 v[20:23], v212 offset0:10 offset1:15
	global_load_dwordx2 v[106:107], v224, s[6:7] offset:640
	ds_read2_b64 v[24:27], v212 offset0:20 offset1:25
	ds_read2_b64 v[28:31], v212 offset0:30 offset1:35
	;; [unrolled: 1-line block ×5, first 2 shown]
	v_mov_b32_e32 v117, v56
	v_mov_b32_e32 v118, v57
	s_waitcnt vmcnt(13) lgkmcnt(5)
	v_mul_f32_e32 v57, v23, v81
	s_waitcnt vmcnt(12) lgkmcnt(4)
	v_mul_f32_e32 v61, v25, v83
	s_waitcnt vmcnt(11)
	v_mul_f32_e32 v110, v27, v85
	s_waitcnt vmcnt(10) lgkmcnt(3)
	v_mul_f32_e32 v111, v29, v87
	s_waitcnt vmcnt(9)
	;; [unrolled: 4-line block ×4, first 2 shown]
	v_mul_f32_e32 v116, v69, v97
	v_mul_f32_e32 v56, v17, v59
	;; [unrolled: 1-line block ×3, first 2 shown]
	v_fma_f32 v108, v16, v58, -v56
	v_fmac_f32_e32 v109, v17, v58
	v_mul_f32_e32 v16, v19, v71
	v_mul_f32_e32 v17, v18, v71
	;; [unrolled: 1-line block ×13, first 2 shown]
	v_fma_f32 v16, v18, v70, -v16
	v_fmac_f32_e32 v17, v19, v70
	v_fma_f32 v58, v20, v78, -v56
	v_fmac_f32_e32 v59, v21, v78
	;; [unrolled: 2-line block ×11, first 2 shown]
	ds_write2_b64 v212, v[108:109], v[16:17] offset1:5
	ds_write2_b64 v212, v[58:59], v[70:71] offset0:10 offset1:15
	ds_write2_b64 v212, v[78:79], v[80:81] offset0:20 offset1:25
	;; [unrolled: 1-line block ×5, first 2 shown]
	ds_read2_b64 v[16:19], v212 offset0:70 offset1:75
	s_waitcnt vmcnt(4) lgkmcnt(7)
	v_mul_f32_e32 v97, v75, v99
	v_mul_f32_e32 v95, v74, v99
	s_waitcnt vmcnt(3)
	v_mul_f32_e32 v99, v77, v101
	v_mul_f32_e32 v21, v76, v101
	v_fma_f32 v94, v74, v98, -v97
	v_fmac_f32_e32 v95, v75, v98
	v_fma_f32 v20, v76, v100, -v99
	v_fmac_f32_e32 v21, v77, v100
	ds_write2_b64 v212, v[94:95], v[20:21] offset0:60 offset1:65
	s_waitcnt vmcnt(2) lgkmcnt(1)
	v_mul_f32_e32 v20, v17, v103
	v_mul_f32_e32 v21, v16, v103
	v_fma_f32 v20, v16, v102, -v20
	v_fmac_f32_e32 v21, v17, v102
	ds_read_b64 v[16:17], v212 offset:640
	s_waitcnt vmcnt(1)
	v_mul_f32_e32 v22, v19, v105
	v_mul_f32_e32 v23, v18, v105
	v_fma_f32 v22, v18, v104, -v22
	v_fmac_f32_e32 v23, v19, v104
	s_waitcnt vmcnt(0) lgkmcnt(0)
	v_mul_f32_e32 v18, v17, v107
	v_mul_f32_e32 v19, v16, v107
	v_mov_b32_e32 v56, v117
	v_mov_b32_e32 v57, v118
	v_fma_f32 v18, v16, v106, -v18
	v_fmac_f32_e32 v19, v17, v106
	ds_write2_b64 v212, v[20:21], v[22:23] offset0:70 offset1:75
	ds_write_b64 v212, v[18:19] offset:640
.LBB0_9:
	s_or_b64 exec, exec, s[4:5]
	s_waitcnt lgkmcnt(0)
	s_barrier
	s_and_saveexec_b64 s[4:5], vcc
	s_cbranch_execz .LBB0_11
; %bb.10:
	ds_read2_b64 v[8:11], v212 offset1:5
	ds_read2_b64 v[12:15], v212 offset0:10 offset1:15
	ds_read2_b64 v[52:55], v212 offset0:20 offset1:25
	;; [unrolled: 1-line block ×7, first 2 shown]
	ds_read_b64 v[72:73], v212 offset:640
.LBB0_11:
	s_or_b64 exec, exec, s[4:5]
	v_mov_b32_e32 v22, v4
	v_mov_b32_e32 v23, v4
	;; [unrolled: 1-line block ×12, first 2 shown]
	s_waitcnt lgkmcnt(0)
	s_barrier
	s_and_saveexec_b64 s[4:5], vcc
	s_cbranch_execz .LBB0_13
; %bb.12:
	v_pk_add_f32 v[24:25], v[10:11], v[8:9]
	v_pk_add_f32 v[146:147], v[10:11], v[72:73] neg_lo:[0,1] neg_hi:[0,1]
	v_pk_add_f32 v[24:25], v[12:13], v[24:25]
	s_mov_b32 s6, 0x3f6eb680
	v_pk_add_f32 v[24:25], v[14:15], v[24:25]
	s_mov_b32 s30, 0xbeb8f4ab
	v_pk_add_f32 v[24:25], v[52:53], v[24:25]
	v_pk_add_f32 v[144:145], v[72:73], v[10:11]
	;; [unrolled: 1-line block ×5, first 2 shown]
	v_pk_add_f32 v[142:143], v[12:13], v[34:35] neg_lo:[0,1] neg_hi:[0,1]
	v_pk_add_f32 v[24:25], v[42:43], v[24:25]
	s_mov_b32 s7, 0x3eb8f4ab
	v_pk_add_f32 v[24:25], v[48:49], v[24:25]
	v_pk_mul_f32 v[12:13], v[146:147], s[30:31] op_sel_hi:[1,0]
	v_pk_add_f32 v[24:25], v[50:51], v[24:25]
	s_mov_b32 s38, 0xbf2c7751
	v_pk_add_f32 v[24:25], v[44:45], v[24:25]
	v_accvgpr_write_b32 a0, v225
	v_pk_add_f32 v[24:25], v[46:47], v[24:25]
	v_lshl_add_u32 v225, v60, 3, v57
	v_pk_add_f32 v[24:25], v[36:37], v[24:25]
	v_pk_add_f32 v[124:125], v[32:33], v[14:15]
	;; [unrolled: 1-line block ×3, first 2 shown]
	v_pk_add_f32 v[130:131], v[14:15], v[32:33] neg_lo:[0,1] neg_hi:[0,1]
	v_pk_add_f32 v[24:25], v[32:33], v[24:25]
	v_pk_fma_f32 v[14:15], v[144:145], s[6:7], v[12:13] op_sel:[0,0,1] op_sel_hi:[1,0,0]
	v_pk_add_f32 v[24:25], v[34:35], v[24:25]
	v_pk_fma_f32 v[248:249], v[144:145], s[6:7], v[12:13] op_sel:[0,0,1] op_sel_hi:[1,0,0] neg_lo:[0,0,1] neg_hi:[0,0,1]
	v_pk_add_f32 v[60:61], v[72:73], v[24:25]
	s_mov_b32 s14, 0x3f3d2fb0
	v_pk_mul_f32 v[24:25], v[142:143], s[38:39] op_sel_hi:[1,0]
	v_accvgpr_write_b32 a3, v15
	v_mov_b32_e32 v15, v249
	v_pk_fma_f32 v[28:29], v[136:137], s[14:15], v[24:25] op_sel:[0,0,1] op_sel_hi:[1,0,0]
	v_pk_fma_f32 v[244:245], v[136:137], s[14:15], v[24:25] op_sel:[0,0,1] op_sel_hi:[1,0,0] neg_lo:[0,0,1] neg_hi:[0,0,1]
	v_pk_add_f32 v[26:27], v[8:9], v[14:15]
	v_accvgpr_write_b32 a5, v29
	v_mov_b32_e32 v29, v245
	s_mov_b32 s46, 0xbf65296c
	v_pk_add_f32 v[30:31], v[28:29], v[26:27]
	s_mov_b32 s20, 0x3ee437d1
	v_pk_mul_f32 v[28:29], v[130:131], s[46:47] op_sel_hi:[1,0]
	v_pk_add_f32 v[122:123], v[52:53], v[38:39] neg_lo:[0,1] neg_hi:[0,1]
	v_pk_fma_f32 v[32:33], v[124:125], s[20:21], v[28:29] op_sel:[0,0,1] op_sel_hi:[1,0,0]
	v_pk_fma_f32 v[240:241], v[124:125], s[20:21], v[28:29] op_sel:[0,0,1] op_sel_hi:[1,0,0] neg_lo:[0,0,1] neg_hi:[0,0,1]
	v_accvgpr_write_b32 a7, v33
	v_mov_b32_e32 v33, v241
	s_mov_b32 s36, 0xbf7ee86f
	v_pk_add_f32 v[116:117], v[38:39], v[52:53]
	v_pk_add_f32 v[34:35], v[32:33], v[30:31]
	s_mov_b32 s24, 0x3dbcf732
	v_pk_mul_f32 v[32:33], v[122:123], s[36:37] op_sel_hi:[1,0]
	v_pk_add_f32 v[108:109], v[36:37], v[54:55]
	v_pk_add_f32 v[114:115], v[54:55], v[36:37] neg_lo:[0,1] neg_hi:[0,1]
	v_pk_fma_f32 v[36:37], v[116:117], s[24:25], v[32:33] op_sel:[0,0,1] op_sel_hi:[1,0,0]
	v_pk_fma_f32 v[236:237], v[116:117], s[24:25], v[32:33] op_sel:[0,0,1] op_sel_hi:[1,0,0] neg_lo:[0,0,1] neg_hi:[0,0,1]
	v_accvgpr_write_b32 a9, v37
	v_mov_b32_e32 v37, v237
	s_mov_b32 s26, 0xbf763a35
	v_pk_add_f32 v[38:39], v[36:37], v[34:35]
	s_mov_b32 s22, 0xbe8c1d8e
	v_pk_mul_f32 v[36:37], v[114:115], s[26:27] op_sel_hi:[1,0]
	v_pk_add_f32 v[100:101], v[46:47], v[40:41]
	v_pk_add_f32 v[106:107], v[40:41], v[46:47] neg_lo:[0,1] neg_hi:[0,1]
	v_pk_fma_f32 v[40:41], v[108:109], s[22:23], v[36:37] op_sel:[0,0,1] op_sel_hi:[1,0,0]
	v_pk_fma_f32 v[232:233], v[108:109], s[22:23], v[36:37] op_sel:[0,0,1] op_sel_hi:[1,0,0] neg_lo:[0,0,1] neg_hi:[0,0,1]
	v_accvgpr_write_b32 a11, v41
	v_mov_b32_e32 v41, v233
	s_mov_b32 s28, 0xbf4c4adb
	v_pk_add_f32 v[90:91], v[44:45], v[42:43]
	v_pk_add_f32 v[98:99], v[42:43], v[44:45] neg_lo:[0,1] neg_hi:[0,1]
	v_pk_add_f32 v[42:43], v[40:41], v[38:39]
	s_mov_b32 s18, 0xbf1a4643
	v_pk_mul_f32 v[40:41], v[106:107], s[28:29] op_sel_hi:[1,0]
	s_mov_b32 s34, 0xbf06c442
	v_pk_fma_f32 v[44:45], v[100:101], s[18:19], v[40:41] op_sel:[0,0,1] op_sel_hi:[1,0,0]
	v_pk_fma_f32 v[226:227], v[100:101], s[18:19], v[40:41] op_sel:[0,0,1] op_sel_hi:[1,0,0] neg_lo:[0,0,1] neg_hi:[0,0,1]
	v_accvgpr_write_b32 a13, v45
	v_mov_b32_e32 v45, v227
	v_pk_add_f32 v[46:47], v[44:45], v[42:43]
	s_mov_b32 s16, 0xbf59a7d5
	v_pk_mul_f32 v[44:45], v[98:99], s[34:35] op_sel_hi:[1,0]
	v_pk_add_f32 v[86:87], v[48:49], v[50:51]
	v_pk_add_f32 v[58:59], v[48:49], v[50:51] neg_lo:[0,1] neg_hi:[0,1]
	v_pk_fma_f32 v[48:49], v[90:91], s[16:17], v[44:45] op_sel:[0,0,1] op_sel_hi:[1,0,0]
	v_pk_fma_f32 v[50:51], v[90:91], s[16:17], v[44:45] op_sel:[0,0,1] op_sel_hi:[1,0,0] neg_lo:[0,0,1] neg_hi:[0,0,1]
	s_mov_b32 s10, 0xbf7ba420
	v_accvgpr_write_b32 a15, v49
	v_mov_b32_e32 v49, v51
	s_mov_b32 s11, 0xbe3c28d5
	v_pk_add_f32 v[52:53], v[48:49], v[46:47]
	v_mov_b32_e32 v46, v86
	v_mov_b32_e32 v86, v59
	s_mov_b32 s40, s11
	s_mov_b32 s41, s10
	v_mov_b32_e32 v47, v58
	v_pk_mul_f32 v[12:13], v[86:87], s[40:41]
	v_pk_mul_f32 v[64:65], v[142:143], s[36:37] op_sel_hi:[1,0]
	v_pk_fma_f32 v[10:11], v[46:47], s[10:11], v[12:13]
	v_pk_fma_f32 v[54:55], v[46:47], s[10:11], v[12:13] neg_lo:[1,0,0] neg_hi:[1,0,0]
	v_pk_fma_f32 v[68:69], v[136:137], s[24:25], v[64:65] op_sel:[0,0,1] op_sel_hi:[1,0,0]
	v_mov_b32_e32 v54, v10
	v_pk_add_f32 v[52:53], v[54:55], v[52:53]
	ds_write2_b64 v225, v[60:61], v[52:53] offset1:1
	v_pk_mul_f32 v[60:61], v[146:147], s[38:39] op_sel_hi:[1,0]
	v_pk_fma_f32 v[64:65], v[136:137], s[24:25], v[64:65] op_sel:[0,0,1] op_sel_hi:[1,0,0] neg_lo:[0,0,1] neg_hi:[0,0,1]
	v_pk_fma_f32 v[62:63], v[144:145], s[14:15], v[60:61] op_sel:[0,0,1] op_sel_hi:[1,0,0]
	v_pk_fma_f32 v[60:61], v[144:145], s[14:15], v[60:61] op_sel:[0,0,1] op_sel_hi:[1,0,0] neg_lo:[0,0,1] neg_hi:[0,0,1]
	v_mov_b32_e32 v227, v63
	v_mov_b32_e32 v63, v61
	v_pk_add_f32 v[66:67], v[8:9], v[62:63]
	v_mov_b32_e32 v233, v69
	v_mov_b32_e32 v69, v65
	v_pk_add_f32 v[70:71], v[68:69], v[66:67]
	v_pk_mul_f32 v[68:69], v[130:131], s[28:29] op_sel_hi:[1,0]
	s_mov_b32 s42, s11
	v_pk_fma_f32 v[72:73], v[124:125], s[18:19], v[68:69] op_sel:[0,0,1] op_sel_hi:[1,0,0]
	v_pk_fma_f32 v[68:69], v[124:125], s[18:19], v[68:69] op_sel:[0,0,1] op_sel_hi:[1,0,0] neg_lo:[0,0,1] neg_hi:[0,0,1]
	v_mov_b32_e32 v237, v73
	v_mov_b32_e32 v73, v69
	v_pk_add_f32 v[74:75], v[72:73], v[70:71]
	v_pk_mul_f32 v[72:73], v[122:123], s[42:43] op_sel_hi:[1,0]
	s_mov_b32 s52, 0x3f06c442
	v_pk_fma_f32 v[70:71], v[116:117], s[10:11], v[72:73] op_sel:[0,0,1] op_sel_hi:[1,0,0]
	v_pk_fma_f32 v[72:73], v[116:117], s[10:11], v[72:73] op_sel:[0,0,1] op_sel_hi:[1,0,0] neg_lo:[0,0,1] neg_hi:[0,0,1]
	;; [unrolled: 7-line block ×3, first 2 shown]
	v_mov_b32_e32 v80, v74
	v_mov_b32_e32 v81, v77
	v_pk_add_f32 v[82:83], v[80:81], v[78:79]
	v_pk_mul_f32 v[80:81], v[106:107], s[50:51] op_sel_hi:[1,0]
	v_accvgpr_write_b32 a19, v13
	s_mov_b32 s40, s7
	s_mov_b32 s41, s6
	v_pk_fma_f32 v[78:79], v[100:101], s[22:23], v[80:81] op_sel:[0,0,1] op_sel_hi:[1,0,0]
	v_pk_fma_f32 v[80:81], v[100:101], s[22:23], v[80:81] op_sel:[0,0,1] op_sel_hi:[1,0,0] neg_lo:[0,0,1] neg_hi:[0,0,1]
	v_accvgpr_write_b32 a18, v12
	v_pk_mul_f32 v[12:13], v[86:87], s[40:41]
	v_mov_b32_e32 v84, v78
	v_mov_b32_e32 v85, v81
	s_mov_b32 s40, 0x3f65296c
	v_pk_add_f32 v[92:93], v[84:85], v[82:83]
	v_pk_mul_f32 v[84:85], v[98:99], s[40:41] op_sel_hi:[1,0]
	v_pk_mul_f32 v[96:97], v[146:147], s[46:47] op_sel_hi:[1,0]
	v_pk_fma_f32 v[82:83], v[90:91], s[20:21], v[84:85] op_sel:[0,0,1] op_sel_hi:[1,0,0]
	v_pk_fma_f32 v[84:85], v[90:91], s[20:21], v[84:85] op_sel:[0,0,1] op_sel_hi:[1,0,0] neg_lo:[0,0,1] neg_hi:[0,0,1]
	v_mov_b32_e32 v94, v82
	v_mov_b32_e32 v95, v85
	v_pk_add_f32 v[92:93], v[94:95], v[92:93]
	v_pk_fma_f32 v[94:95], v[144:145], s[20:21], v[96:97] op_sel:[0,0,1] op_sel_hi:[1,0,0]
	v_pk_fma_f32 v[96:97], v[144:145], s[20:21], v[96:97] op_sel:[0,0,1] op_sel_hi:[1,0,0] neg_lo:[0,0,1] neg_hi:[0,0,1]
	v_mov_b32_e32 v102, v94
	v_mov_b32_e32 v103, v97
	v_pk_mul_f32 v[104:105], v[142:143], s[28:29] op_sel_hi:[1,0]
	v_pk_add_f32 v[110:111], v[8:9], v[102:103]
	v_pk_fma_f32 v[102:103], v[136:137], s[18:19], v[104:105] op_sel:[0,0,1] op_sel_hi:[1,0,0]
	v_pk_fma_f32 v[104:105], v[136:137], s[18:19], v[104:105] op_sel:[0,0,1] op_sel_hi:[1,0,0] neg_lo:[0,0,1] neg_hi:[0,0,1]
	v_mov_b32_e32 v112, v102
	v_mov_b32_e32 v113, v105
	s_mov_b32 s44, 0x3e3c28d5
	v_pk_add_f32 v[118:119], v[112:113], v[110:111]
	v_pk_mul_f32 v[112:113], v[130:131], s[44:45] op_sel_hi:[1,0]
	s_mov_b32 s44, 0x3f2c7751
	v_pk_fma_f32 v[110:111], v[124:125], s[10:11], v[112:113] op_sel:[0,0,1] op_sel_hi:[1,0,0]
	v_pk_fma_f32 v[112:113], v[124:125], s[10:11], v[112:113] op_sel:[0,0,1] op_sel_hi:[1,0,0] neg_lo:[0,0,1] neg_hi:[0,0,1]
	v_mov_b32_e32 v120, v110
	v_mov_b32_e32 v121, v113
	v_pk_add_f32 v[126:127], v[120:121], v[118:119]
	v_pk_mul_f32 v[120:121], v[122:123], s[50:51] op_sel_hi:[1,0]
	v_accvgpr_write_b32 a17, v11
	v_pk_fma_f32 v[118:119], v[116:117], s[22:23], v[120:121] op_sel:[0,0,1] op_sel_hi:[1,0,0]
	v_pk_fma_f32 v[120:121], v[116:117], s[22:23], v[120:121] op_sel:[0,0,1] op_sel_hi:[1,0,0] neg_lo:[0,0,1] neg_hi:[0,0,1]
	v_mov_b32_e32 v128, v118
	v_mov_b32_e32 v129, v121
	v_pk_add_f32 v[132:133], v[128:129], v[126:127]
	v_pk_mul_f32 v[128:129], v[114:115], s[44:45] op_sel_hi:[1,0]
	v_pk_fma_f32 v[10:11], v[46:47], s[6:7], v[12:13]
	v_pk_fma_f32 v[126:127], v[108:109], s[14:15], v[128:129] op_sel:[0,0,1] op_sel_hi:[1,0,0]
	v_pk_fma_f32 v[128:129], v[108:109], s[14:15], v[128:129] op_sel:[0,0,1] op_sel_hi:[1,0,0] neg_lo:[0,0,1] neg_hi:[0,0,1]
	v_mov_b32_e32 v134, v126
	v_mov_b32_e32 v135, v129
	v_pk_add_f32 v[138:139], v[134:135], v[132:133]
	v_pk_mul_f32 v[134:135], v[106:107], s[30:31] op_sel_hi:[1,0]
	v_pk_fma_f32 v[88:89], v[46:47], s[6:7], v[12:13] neg_lo:[1,0,0] neg_hi:[1,0,0]
	v_pk_fma_f32 v[132:133], v[100:101], s[6:7], v[134:135] op_sel:[0,0,1] op_sel_hi:[1,0,0]
	v_pk_fma_f32 v[134:135], v[100:101], s[6:7], v[134:135] op_sel:[0,0,1] op_sel_hi:[1,0,0] neg_lo:[0,0,1] neg_hi:[0,0,1]
	v_mov_b32_e32 v140, v132
	v_mov_b32_e32 v141, v135
	v_mov_b32_e32 v88, v10
	s_mov_b32 s35, s16
	v_pk_add_f32 v[152:153], v[140:141], v[138:139]
	v_pk_mul_f32 v[140:141], v[98:99], s[36:37] op_sel_hi:[1,0]
	v_pk_add_f32 v[148:149], v[88:89], v[92:93]
	s_mov_b32 s17, s34
	v_pk_mul_f32 v[92:93], v[86:87], s[34:35]
	v_pk_fma_f32 v[138:139], v[90:91], s[24:25], v[140:141] op_sel:[0,0,1] op_sel_hi:[1,0,0]
	v_pk_fma_f32 v[140:141], v[90:91], s[24:25], v[140:141] op_sel:[0,0,1] op_sel_hi:[1,0,0] neg_lo:[0,0,1] neg_hi:[0,0,1]
	v_pk_fma_f32 v[88:89], v[46:47], s[16:17], v[92:93]
	v_pk_fma_f32 v[150:151], v[46:47], s[16:17], v[92:93] neg_lo:[1,0,0] neg_hi:[1,0,0]
	v_mov_b32_e32 v154, v138
	v_mov_b32_e32 v155, v141
	;; [unrolled: 1-line block ×3, first 2 shown]
	v_pk_add_f32 v[152:153], v[154:155], v[152:153]
	v_pk_mul_f32 v[154:155], v[146:147], s[36:37] op_sel_hi:[1,0]
	v_pk_add_f32 v[150:151], v[150:151], v[152:153]
	v_pk_fma_f32 v[152:153], v[144:145], s[24:25], v[154:155] op_sel:[0,0,1] op_sel_hi:[1,0,0]
	v_pk_fma_f32 v[154:155], v[144:145], s[24:25], v[154:155] op_sel:[0,0,1] op_sel_hi:[1,0,0] neg_lo:[0,0,1] neg_hi:[0,0,1]
	v_mov_b32_e32 v156, v152
	v_mov_b32_e32 v157, v155
	v_pk_mul_f32 v[158:159], v[142:143], s[42:43] op_sel_hi:[1,0]
	v_pk_add_f32 v[160:161], v[8:9], v[156:157]
	v_pk_fma_f32 v[156:157], v[136:137], s[10:11], v[158:159] op_sel:[0,0,1] op_sel_hi:[1,0,0]
	v_pk_fma_f32 v[158:159], v[136:137], s[10:11], v[158:159] op_sel:[0,0,1] op_sel_hi:[1,0,0] neg_lo:[0,0,1] neg_hi:[0,0,1]
	v_mov_b32_e32 v162, v156
	v_mov_b32_e32 v163, v159
	v_pk_add_f32 v[164:165], v[162:163], v[160:161]
	v_pk_mul_f32 v[162:163], v[130:131], s[50:51] op_sel_hi:[1,0]
	s_mov_b32 s48, s7
	v_pk_fma_f32 v[160:161], v[124:125], s[22:23], v[162:163] op_sel:[0,0,1] op_sel_hi:[1,0,0]
	v_pk_fma_f32 v[162:163], v[124:125], s[22:23], v[162:163] op_sel:[0,0,1] op_sel_hi:[1,0,0] neg_lo:[0,0,1] neg_hi:[0,0,1]
	v_mov_b32_e32 v166, v160
	v_mov_b32_e32 v167, v163
	v_pk_add_f32 v[168:169], v[166:167], v[164:165]
	v_pk_mul_f32 v[166:167], v[122:123], s[48:49] op_sel_hi:[1,0]
	s_mov_b32 s54, 0x3f4c4adb
	v_pk_fma_f32 v[164:165], v[116:117], s[6:7], v[166:167] op_sel:[0,0,1] op_sel_hi:[1,0,0]
	v_pk_fma_f32 v[166:167], v[116:117], s[6:7], v[166:167] op_sel:[0,0,1] op_sel_hi:[1,0,0] neg_lo:[0,0,1] neg_hi:[0,0,1]
	v_mov_b32_e32 v170, v164
	v_mov_b32_e32 v171, v167
	v_pk_add_f32 v[172:173], v[170:171], v[168:169]
	v_pk_mul_f32 v[170:171], v[114:115], s[46:47] op_sel_hi:[1,0]
	v_pk_mul_f32 v[186:187], v[146:147], s[26:27] op_sel_hi:[1,0]
	v_pk_fma_f32 v[168:169], v[108:109], s[20:21], v[170:171] op_sel:[0,0,1] op_sel_hi:[1,0,0]
	v_pk_fma_f32 v[170:171], v[108:109], s[20:21], v[170:171] op_sel:[0,0,1] op_sel_hi:[1,0,0] neg_lo:[0,0,1] neg_hi:[0,0,1]
	v_mov_b32_e32 v174, v168
	v_mov_b32_e32 v175, v171
	v_pk_add_f32 v[176:177], v[174:175], v[172:173]
	v_pk_mul_f32 v[174:175], v[106:107], s[34:35] op_sel_hi:[1,0]
	v_pk_mul_f32 v[190:191], v[142:143], s[52:53] op_sel_hi:[1,0]
	v_pk_fma_f32 v[172:173], v[100:101], s[16:17], v[174:175] op_sel:[0,0,1] op_sel_hi:[1,0,0]
	v_pk_fma_f32 v[174:175], v[100:101], s[16:17], v[174:175] op_sel:[0,0,1] op_sel_hi:[1,0,0] neg_lo:[0,0,1] neg_hi:[0,0,1]
	v_mov_b32_e32 v178, v172
	v_mov_b32_e32 v179, v175
	v_pk_add_f32 v[182:183], v[178:179], v[176:177]
	v_pk_mul_f32 v[178:179], v[98:99], s[54:55] op_sel_hi:[1,0]
	s_mov_b32 s45, s14
	v_pk_fma_f32 v[176:177], v[90:91], s[18:19], v[178:179] op_sel:[0,0,1] op_sel_hi:[1,0,0]
	v_pk_fma_f32 v[178:179], v[90:91], s[18:19], v[178:179] op_sel:[0,0,1] op_sel_hi:[1,0,0] neg_lo:[0,0,1] neg_hi:[0,0,1]
	v_mov_b32_e32 v184, v176
	v_mov_b32_e32 v185, v179
	v_pk_add_f32 v[182:183], v[184:185], v[182:183]
	v_pk_fma_f32 v[184:185], v[144:145], s[22:23], v[186:187] op_sel:[0,0,1] op_sel_hi:[1,0,0]
	v_pk_fma_f32 v[186:187], v[144:145], s[22:23], v[186:187] op_sel:[0,0,1] op_sel_hi:[1,0,0] neg_lo:[0,0,1] neg_hi:[0,0,1]
	v_mov_b32_e32 v188, v184
	v_mov_b32_e32 v189, v187
	v_pk_add_f32 v[192:193], v[8:9], v[188:189]
	v_pk_fma_f32 v[188:189], v[136:137], s[16:17], v[190:191] op_sel:[0,0,1] op_sel_hi:[1,0,0]
	v_pk_fma_f32 v[190:191], v[136:137], s[16:17], v[190:191] op_sel:[0,0,1] op_sel_hi:[1,0,0] neg_lo:[0,0,1] neg_hi:[0,0,1]
	v_mov_b32_e32 v194, v188
	v_mov_b32_e32 v195, v191
	s_mov_b32 s15, s44
	v_pk_add_f32 v[196:197], v[194:195], v[192:193]
	v_pk_mul_f32 v[194:195], v[130:131], s[44:45] op_sel_hi:[1,0]
	s_mov_b32 s29, s18
	v_pk_fma_f32 v[192:193], v[124:125], s[14:15], v[194:195] op_sel:[0,0,1] op_sel_hi:[1,0,0]
	v_pk_fma_f32 v[194:195], v[124:125], s[14:15], v[194:195] op_sel:[0,0,1] op_sel_hi:[1,0,0] neg_lo:[0,0,1] neg_hi:[0,0,1]
	v_mov_b32_e32 v198, v192
	v_mov_b32_e32 v199, v195
	v_pk_add_f32 v[200:201], v[198:199], v[196:197]
	v_pk_mul_f32 v[198:199], v[122:123], s[46:47] op_sel_hi:[1,0]
	s_mov_b32 s46, 0x3f7ee86f
	v_pk_fma_f32 v[196:197], v[116:117], s[20:21], v[198:199] op_sel:[0,0,1] op_sel_hi:[1,0,0]
	v_pk_fma_f32 v[198:199], v[116:117], s[20:21], v[198:199] op_sel:[0,0,1] op_sel_hi:[1,0,0] neg_lo:[0,0,1] neg_hi:[0,0,1]
	v_mov_b32_e32 v202, v196
	v_mov_b32_e32 v203, v199
	;; [unrolled: 7-line block ×3, first 2 shown]
	v_pk_add_f32 v[208:209], v[206:207], v[204:205]
	v_pk_mul_f32 v[206:207], v[106:107], s[46:47] op_sel_hi:[1,0]
	v_pk_mul_f32 v[230:231], v[142:143], s[50:51] op_sel_hi:[1,0]
	v_pk_fma_f32 v[204:205], v[100:101], s[24:25], v[206:207] op_sel:[0,0,1] op_sel_hi:[1,0,0]
	v_pk_fma_f32 v[206:207], v[100:101], s[24:25], v[206:207] op_sel:[0,0,1] op_sel_hi:[1,0,0] neg_lo:[0,0,1] neg_hi:[0,0,1]
	v_mov_b32_e32 v210, v204
	v_mov_b32_e32 v211, v207
	v_pk_add_f32 v[220:221], v[210:211], v[208:209]
	v_pk_mul_f32 v[210:211], v[98:99], s[30:31] op_sel_hi:[1,0]
	v_pk_fma_f32 v[62:63], v[136:137], s[22:23], v[230:231] op_sel:[0,0,1] op_sel_hi:[1,0,0]
	v_pk_fma_f32 v[208:209], v[90:91], s[6:7], v[210:211] op_sel:[0,0,1] op_sel_hi:[1,0,0]
	v_pk_fma_f32 v[210:211], v[90:91], s[6:7], v[210:211] op_sel:[0,0,1] op_sel_hi:[1,0,0] neg_lo:[0,0,1] neg_hi:[0,0,1]
	v_mov_b32_e32 v222, v208
	v_mov_b32_e32 v223, v211
	v_pk_add_f32 v[220:221], v[222:223], v[220:221]
	v_pk_mul_f32 v[222:223], v[146:147], s[28:29] op_sel_hi:[1,0]
	v_pk_fma_f32 v[230:231], v[136:137], s[22:23], v[230:231] op_sel:[0,0,1] op_sel_hi:[1,0,0] neg_lo:[0,0,1] neg_hi:[0,0,1]
	v_pk_fma_f32 v[66:67], v[144:145], s[18:19], v[222:223] op_sel:[0,0,1] op_sel_hi:[1,0,0]
	v_pk_fma_f32 v[222:223], v[144:145], s[18:19], v[222:223] op_sel:[0,0,1] op_sel_hi:[1,0,0] neg_lo:[0,0,1] neg_hi:[0,0,1]
	v_mov_b32_e32 v228, v66
	v_mov_b32_e32 v229, v223
	v_pk_add_f32 v[228:229], v[8:9], v[228:229]
	v_mov_b32_e32 v234, v62
	v_mov_b32_e32 v235, v231
	v_pk_add_f32 v[228:229], v[234:235], v[228:229]
	v_pk_mul_f32 v[234:235], v[130:131], s[30:31] op_sel_hi:[1,0]
	ds_write2_b64 v225, v[148:149], v[150:151] offset0:2 offset1:3
	v_pk_fma_f32 v[58:59], v[124:125], s[6:7], v[234:235] op_sel:[0,0,1] op_sel_hi:[1,0,0]
	v_pk_fma_f32 v[234:235], v[124:125], s[6:7], v[234:235] op_sel:[0,0,1] op_sel_hi:[1,0,0] neg_lo:[0,0,1] neg_hi:[0,0,1]
	v_mov_b32_e32 v238, v58
	v_mov_b32_e32 v239, v235
	v_pk_add_f32 v[228:229], v[238:239], v[228:229]
	v_pk_mul_f32 v[238:239], v[122:123], s[34:35] op_sel_hi:[1,0]
	v_pk_mul_f32 v[150:151], v[86:87], s[44:45]
	v_pk_fma_f32 v[54:55], v[116:117], s[16:17], v[238:239] op_sel:[0,0,1] op_sel_hi:[1,0,0]
	v_pk_fma_f32 v[238:239], v[116:117], s[16:17], v[238:239] op_sel:[0,0,1] op_sel_hi:[1,0,0] neg_lo:[0,0,1] neg_hi:[0,0,1]
	v_mov_b32_e32 v242, v54
	v_mov_b32_e32 v243, v239
	v_pk_add_f32 v[228:229], v[242:243], v[228:229]
	v_pk_mul_f32 v[242:243], v[114:115], s[46:47] op_sel_hi:[1,0]
	v_pk_fma_f32 v[148:149], v[46:47], s[14:15], v[150:151]
	v_pk_fma_f32 v[180:181], v[46:47], s[14:15], v[150:151] neg_lo:[1,0,0] neg_hi:[1,0,0]
	v_pk_fma_f32 v[52:53], v[108:109], s[24:25], v[242:243] op_sel:[0,0,1] op_sel_hi:[1,0,0]
	v_pk_fma_f32 v[242:243], v[108:109], s[24:25], v[242:243] op_sel:[0,0,1] op_sel_hi:[1,0,0] neg_lo:[0,0,1] neg_hi:[0,0,1]
	v_mov_b32_e32 v180, v148
	v_mov_b32_e32 v246, v52
	v_mov_b32_e32 v247, v243
	v_pk_add_f32 v[216:217], v[180:181], v[182:183]
	v_pk_mul_f32 v[182:183], v[86:87], s[28:29]
	v_pk_add_f32 v[228:229], v[246:247], v[228:229]
	v_pk_mul_f32 v[246:247], v[106:107], s[38:39] op_sel_hi:[1,0]
	v_pk_fma_f32 v[180:181], v[46:47], s[18:19], v[182:183]
	v_pk_fma_f32 v[218:219], v[46:47], s[18:19], v[182:183] neg_lo:[1,0,0] neg_hi:[1,0,0]
	v_pk_fma_f32 v[48:49], v[100:101], s[14:15], v[246:247] op_sel:[0,0,1] op_sel_hi:[1,0,0]
	v_pk_fma_f32 v[246:247], v[100:101], s[14:15], v[246:247] op_sel:[0,0,1] op_sel_hi:[1,0,0] neg_lo:[0,0,1] neg_hi:[0,0,1]
	v_mov_b32_e32 v218, v180
	v_mov_b32_e32 v250, v48
	;; [unrolled: 1-line block ×3, first 2 shown]
	v_pk_add_f32 v[218:219], v[218:219], v[220:221]
	s_mov_b32 s41, s20
	v_pk_add_f32 v[228:229], v[250:251], v[228:229]
	v_pk_mul_f32 v[250:251], v[98:99], s[42:43] op_sel_hi:[1,0]
	ds_write2_b64 v225, v[216:217], v[218:219] offset0:4 offset1:5
	s_mov_b32 s21, s40
	v_pk_mul_f32 v[216:217], v[86:87], s[40:41]
	v_pk_fma_f32 v[252:253], v[90:91], s[10:11], v[250:251] op_sel:[0,0,1] op_sel_hi:[1,0,0]
	v_pk_fma_f32 v[250:251], v[90:91], s[10:11], v[250:251] op_sel:[0,0,1] op_sel_hi:[1,0,0] neg_lo:[0,0,1] neg_hi:[0,0,1]
	v_pk_fma_f32 v[218:219], v[46:47], s[20:21], v[216:217]
	v_pk_fma_f32 v[220:221], v[46:47], s[20:21], v[216:217] neg_lo:[1,0,0] neg_hi:[1,0,0]
	v_mov_b32_e32 v254, v252
	v_mov_b32_e32 v255, v251
	;; [unrolled: 1-line block ×3, first 2 shown]
	v_pk_add_f32 v[228:229], v[254:255], v[228:229]
	v_pk_mul_f32 v[214:215], v[142:143], s[40:41] op_sel_hi:[1,0]
	v_pk_add_f32 v[220:221], v[220:221], v[228:229]
	v_pk_mul_f32 v[228:229], v[146:147], s[34:35] op_sel_hi:[1,0]
	v_pk_fma_f32 v[42:43], v[136:137], s[20:21], v[214:215] op_sel:[0,0,1] op_sel_hi:[1,0,0]
	v_pk_fma_f32 v[44:45], v[144:145], s[16:17], v[228:229] op_sel:[0,0,1] op_sel_hi:[1,0,0]
	v_pk_fma_f32 v[228:229], v[144:145], s[16:17], v[228:229] op_sel:[0,0,1] op_sel_hi:[1,0,0] neg_lo:[0,0,1] neg_hi:[0,0,1]
	v_mov_b32_e32 v254, v44
	v_mov_b32_e32 v255, v229
	v_pk_fma_f32 v[214:215], v[136:137], s[20:21], v[214:215] op_sel:[0,0,1] op_sel_hi:[1,0,0] neg_lo:[0,0,1] neg_hi:[0,0,1]
	v_pk_add_f32 v[254:255], v[8:9], v[254:255]
	v_mov_b32_e32 v44, v56
	v_mov_b32_e32 v56, v42
	;; [unrolled: 1-line block ×3, first 2 shown]
	v_pk_add_f32 v[56:57], v[56:57], v[254:255]
	v_pk_mul_f32 v[254:255], v[130:131], s[36:37] op_sel_hi:[1,0]
	v_mov_b32_e32 v51, v11
	v_pk_fma_f32 v[40:41], v[124:125], s[24:25], v[254:255] op_sel:[0,0,1] op_sel_hi:[1,0,0]
	v_pk_fma_f32 v[254:255], v[124:125], s[24:25], v[254:255] op_sel:[0,0,1] op_sel_hi:[1,0,0] neg_lo:[0,0,1] neg_hi:[0,0,1]
	v_mov_b32_e32 v10, v40
	v_mov_b32_e32 v11, v255
	v_pk_add_f32 v[10:11], v[10:11], v[56:57]
	v_pk_mul_f32 v[56:57], v[122:123], s[54:55] op_sel_hi:[1,0]
	v_accvgpr_write_b32 a21, v13
	v_pk_fma_f32 v[38:39], v[116:117], s[18:19], v[56:57] op_sel:[0,0,1] op_sel_hi:[1,0,0]
	v_pk_fma_f32 v[56:57], v[116:117], s[18:19], v[56:57] op_sel:[0,0,1] op_sel_hi:[1,0,0] neg_lo:[0,0,1] neg_hi:[0,0,1]
	v_accvgpr_write_b32 a20, v12
	v_mov_b32_e32 v12, v38
	v_mov_b32_e32 v13, v57
	v_pk_add_f32 v[10:11], v[12:13], v[10:11]
	v_pk_mul_f32 v[12:13], v[114:115], s[30:31] op_sel_hi:[1,0]
	s_mov_b32 s27, s22
	v_pk_fma_f32 v[36:37], v[108:109], s[6:7], v[12:13] op_sel:[0,0,1] op_sel_hi:[1,0,0]
	v_pk_fma_f32 v[12:13], v[108:109], s[6:7], v[12:13] op_sel:[0,0,1] op_sel_hi:[1,0,0] neg_lo:[0,0,1] neg_hi:[0,0,1]
	v_mov_b32_e32 v14, v36
	v_mov_b32_e32 v15, v13
	v_pk_add_f32 v[10:11], v[14:15], v[10:11]
	v_pk_mul_f32 v[14:15], v[106:107], s[42:43] op_sel_hi:[1,0]
	s_mov_b32 s23, s26
	v_pk_fma_f32 v[34:35], v[100:101], s[10:11], v[14:15] op_sel:[0,0,1] op_sel_hi:[1,0,0]
	v_pk_fma_f32 v[14:15], v[100:101], s[10:11], v[14:15] op_sel:[0,0,1] op_sel_hi:[1,0,0] neg_lo:[0,0,1] neg_hi:[0,0,1]
	v_mov_b32_e32 v24, v34
	v_mov_b32_e32 v25, v15
	v_pk_add_f32 v[10:11], v[24:25], v[10:11]
	v_pk_mul_f32 v[24:25], v[98:99], s[44:45] op_sel_hi:[1,0]
	v_pk_mul_f32 v[142:143], v[142:143], s[48:49] op_sel_hi:[1,0]
	v_pk_fma_f32 v[32:33], v[90:91], s[14:15], v[24:25] op_sel:[0,0,1] op_sel_hi:[1,0,0]
	v_pk_fma_f32 v[24:25], v[90:91], s[14:15], v[24:25] op_sel:[0,0,1] op_sel_hi:[1,0,0] neg_lo:[0,0,1] neg_hi:[0,0,1]
	v_mov_b32_e32 v26, v32
	v_mov_b32_e32 v27, v25
	v_pk_add_f32 v[10:11], v[26:27], v[10:11]
	v_pk_mul_f32 v[26:27], v[86:87], s[26:27]
	v_pk_mul_f32 v[130:131], v[130:131], s[34:35] op_sel_hi:[1,0]
	v_pk_fma_f32 v[30:31], v[46:47], s[22:23], v[26:27]
	v_pk_fma_f32 v[28:29], v[46:47], s[22:23], v[26:27] neg_lo:[1,0,0] neg_hi:[1,0,0]
	v_pk_mul_f32 v[122:123], v[122:123], s[44:45] op_sel_hi:[1,0]
	v_mov_b32_e32 v28, v30
	v_pk_add_f32 v[10:11], v[28:29], v[10:11]
	ds_write2_b64 v225, v[220:221], v[10:11] offset0:6 offset1:7
	v_pk_mul_f32 v[10:11], v[146:147], s[42:43] op_sel_hi:[1,0]
	v_pk_mul_f32 v[114:115], v[114:115], s[28:29] op_sel_hi:[1,0]
	v_pk_fma_f32 v[28:29], v[144:145], s[10:11], v[10:11] op_sel:[0,0,1] op_sel_hi:[1,0,0]
	v_pk_fma_f32 v[10:11], v[144:145], s[10:11], v[10:11] op_sel:[0,0,1] op_sel_hi:[1,0,0] neg_lo:[0,0,1] neg_hi:[0,0,1]
	v_pk_fma_f32 v[144:145], v[136:137], s[6:7], v[142:143] op_sel:[0,0,1] op_sel_hi:[1,0,0]
	v_pk_fma_f32 v[136:137], v[136:137], s[6:7], v[142:143] op_sel:[0,0,1] op_sel_hi:[1,0,0] neg_lo:[0,0,1] neg_hi:[0,0,1]
	v_mov_b32_e32 v142, v28
	v_mov_b32_e32 v143, v11
	v_pk_add_f32 v[142:143], v[8:9], v[142:143]
	v_mov_b32_e32 v146, v144
	v_mov_b32_e32 v147, v137
	v_pk_add_f32 v[142:143], v[146:147], v[142:143]
	v_pk_fma_f32 v[146:147], v[124:125], s[16:17], v[130:131] op_sel:[0,0,1] op_sel_hi:[1,0,0]
	v_pk_fma_f32 v[124:125], v[124:125], s[16:17], v[130:131] op_sel:[0,0,1] op_sel_hi:[1,0,0] neg_lo:[0,0,1] neg_hi:[0,0,1]
	v_mov_b32_e32 v130, v146
	v_mov_b32_e32 v131, v125
	v_pk_add_f32 v[130:131], v[130:131], v[142:143]
	v_pk_fma_f32 v[142:143], v[116:117], s[14:15], v[122:123] op_sel:[0,0,1] op_sel_hi:[1,0,0]
	v_pk_fma_f32 v[116:117], v[116:117], s[14:15], v[122:123] op_sel:[0,0,1] op_sel_hi:[1,0,0] neg_lo:[0,0,1] neg_hi:[0,0,1]
	;; [unrolled: 5-line block ×3, first 2 shown]
	v_mov_b32_e32 v11, v29
	v_mov_b32_e32 v114, v130
	v_mov_b32_e32 v115, v109
	v_pk_mul_f32 v[106:107], v[106:107], s[40:41] op_sel_hi:[1,0]
	v_mov_b32_e32 v137, v145
	v_pk_add_f32 v[10:11], v[8:9], v[10:11]
	v_pk_add_f32 v[114:115], v[114:115], v[122:123]
	v_pk_fma_f32 v[122:123], v[100:101], s[20:21], v[106:107] op_sel:[0,0,1] op_sel_hi:[1,0,0]
	v_pk_fma_f32 v[100:101], v[100:101], s[20:21], v[106:107] op_sel:[0,0,1] op_sel_hi:[1,0,0] neg_lo:[0,0,1] neg_hi:[0,0,1]
	v_pk_add_f32 v[10:11], v[136:137], v[10:11]
	v_mov_b32_e32 v125, v147
	v_mov_b32_e32 v106, v122
	;; [unrolled: 1-line block ×3, first 2 shown]
	v_pk_mul_f32 v[98:99], v[98:99], s[26:27] op_sel_hi:[1,0]
	v_pk_add_f32 v[10:11], v[124:125], v[10:11]
	v_mov_b32_e32 v117, v143
	v_pk_add_f32 v[106:107], v[106:107], v[114:115]
	v_pk_fma_f32 v[114:115], v[90:91], s[22:23], v[98:99] op_sel:[0,0,1] op_sel_hi:[1,0,0]
	v_pk_fma_f32 v[90:91], v[90:91], s[22:23], v[98:99] op_sel:[0,0,1] op_sel_hi:[1,0,0] neg_lo:[0,0,1] neg_hi:[0,0,1]
	s_mov_b32 s47, s24
	v_pk_add_f32 v[10:11], v[116:117], v[10:11]
	v_mov_b32_e32 v109, v131
	v_mov_b32_e32 v98, v114
	;; [unrolled: 1-line block ×3, first 2 shown]
	s_mov_b32 s25, s46
	v_pk_mul_f32 v[86:87], v[86:87], s[46:47]
	v_pk_add_f32 v[10:11], v[108:109], v[10:11]
	v_mov_b32_e32 v101, v123
	v_pk_add_f32 v[98:99], v[98:99], v[106:107]
	v_pk_fma_f32 v[106:107], v[46:47], s[24:25], v[86:87]
	v_pk_fma_f32 v[220:221], v[46:47], s[24:25], v[86:87] neg_lo:[1,0,0] neg_hi:[1,0,0]
	v_pk_fma_f32 v[86:87], v[46:47], s[24:25], v[86:87] neg_lo:[0,0,1] neg_hi:[0,0,1]
	v_pk_add_f32 v[10:11], v[100:101], v[10:11]
	v_mov_b32_e32 v91, v115
	v_mov_b32_e32 v220, v106
	v_mov_b32_e32 v87, v107
	v_pk_add_f32 v[10:11], v[90:91], v[10:11]
	v_pk_add_f32 v[98:99], v[220:221], v[98:99]
	;; [unrolled: 1-line block ×3, first 2 shown]
	v_mov_b32_e32 v229, v45
	ds_write2_b64 v225, v[98:99], v[10:11] offset0:8 offset1:9
	v_pk_fma_f32 v[10:11], v[46:47], s[22:23], v[26:27] neg_lo:[0,0,1] neg_hi:[0,0,1]
	v_pk_add_f32 v[26:27], v[8:9], v[228:229]
	v_mov_b32_e32 v215, v43
	v_pk_add_f32 v[26:27], v[214:215], v[26:27]
	v_mov_b32_e32 v255, v41
	v_pk_add_f32 v[26:27], v[254:255], v[26:27]
	v_mov_b32_e32 v57, v39
	v_pk_add_f32 v[26:27], v[56:57], v[26:27]
	v_mov_b32_e32 v13, v37
	v_pk_add_f32 v[12:13], v[12:13], v[26:27]
	v_mov_b32_e32 v15, v35
	v_mov_b32_e32 v223, v67
	v_pk_add_f32 v[12:13], v[14:15], v[12:13]
	v_pk_add_f32 v[14:15], v[8:9], v[222:223]
	v_mov_b32_e32 v231, v63
	v_pk_add_f32 v[14:15], v[230:231], v[14:15]
	v_mov_b32_e32 v235, v59
	;; [unrolled: 2-line block ×3, first 2 shown]
	v_mov_b32_e32 v25, v33
	v_pk_add_f32 v[14:15], v[238:239], v[14:15]
	v_mov_b32_e32 v243, v53
	v_mov_b32_e32 v11, v31
	v_pk_add_f32 v[12:13], v[24:25], v[12:13]
	v_pk_add_f32 v[14:15], v[242:243], v[14:15]
	v_mov_b32_e32 v247, v49
	v_pk_add_f32 v[10:11], v[10:11], v[12:13]
	v_pk_fma_f32 v[12:13], v[46:47], s[20:21], v[216:217] neg_lo:[0,0,1] neg_hi:[0,0,1]
	v_pk_add_f32 v[14:15], v[246:247], v[14:15]
	v_mov_b32_e32 v251, v253
	v_mov_b32_e32 v13, v219
	v_pk_add_f32 v[14:15], v[250:251], v[14:15]
	v_mov_b32_e32 v187, v185
	v_pk_add_f32 v[12:13], v[12:13], v[14:15]
	ds_write2_b64 v225, v[10:11], v[12:13] offset0:10 offset1:11
	v_pk_add_f32 v[12:13], v[8:9], v[186:187]
	v_mov_b32_e32 v191, v189
	v_pk_add_f32 v[12:13], v[190:191], v[12:13]
	v_mov_b32_e32 v195, v193
	v_mov_b32_e32 v155, v153
	v_pk_add_f32 v[12:13], v[194:195], v[12:13]
	v_mov_b32_e32 v199, v197
	v_pk_add_f32 v[14:15], v[8:9], v[154:155]
	;; [unrolled: 2-line block ×6, first 2 shown]
	v_mov_b32_e32 v167, v165
	v_pk_fma_f32 v[10:11], v[46:47], s[18:19], v[182:183] neg_lo:[0,0,1] neg_hi:[0,0,1]
	v_pk_add_f32 v[12:13], v[206:207], v[12:13]
	v_mov_b32_e32 v211, v209
	v_pk_add_f32 v[14:15], v[166:167], v[14:15]
	v_mov_b32_e32 v171, v169
	v_mov_b32_e32 v11, v181
	v_pk_add_f32 v[12:13], v[210:211], v[12:13]
	v_pk_add_f32 v[14:15], v[170:171], v[14:15]
	v_mov_b32_e32 v175, v173
	v_pk_add_f32 v[10:11], v[10:11], v[12:13]
	v_pk_fma_f32 v[12:13], v[46:47], s[14:15], v[150:151] neg_lo:[0,0,1] neg_hi:[0,0,1]
	v_pk_add_f32 v[14:15], v[174:175], v[14:15]
	v_mov_b32_e32 v179, v177
	v_mov_b32_e32 v13, v149
	v_pk_add_f32 v[14:15], v[178:179], v[14:15]
	v_mov_b32_e32 v97, v95
	v_pk_add_f32 v[12:13], v[12:13], v[14:15]
	ds_write2_b64 v225, v[10:11], v[12:13] offset0:12 offset1:13
	v_pk_add_f32 v[12:13], v[8:9], v[96:97]
	v_mov_b32_e32 v105, v103
	v_pk_add_f32 v[12:13], v[104:105], v[12:13]
	v_mov_b32_e32 v113, v111
	v_pk_add_f32 v[12:13], v[112:113], v[12:13]
	v_mov_b32_e32 v121, v119
	v_pk_add_f32 v[12:13], v[120:121], v[12:13]
	v_mov_b32_e32 v129, v127
	v_mov_b32_e32 v61, v227
	v_pk_add_f32 v[12:13], v[128:129], v[12:13]
	v_mov_b32_e32 v135, v133
	v_pk_add_f32 v[14:15], v[8:9], v[60:61]
	v_mov_b32_e32 v65, v233
	v_pk_fma_f32 v[10:11], v[46:47], s[16:17], v[92:93] neg_lo:[0,0,1] neg_hi:[0,0,1]
	v_pk_add_f32 v[12:13], v[134:135], v[12:13]
	v_mov_b32_e32 v141, v139
	v_pk_add_f32 v[14:15], v[64:65], v[14:15]
	v_mov_b32_e32 v69, v237
	v_mov_b32_e32 v11, v89
	v_pk_add_f32 v[12:13], v[140:141], v[12:13]
	v_pk_add_f32 v[14:15], v[68:69], v[14:15]
	v_mov_b32_e32 v73, v71
	v_pk_add_f32 v[10:11], v[10:11], v[12:13]
	v_accvgpr_read_b32 v12, a20
	v_pk_add_f32 v[14:15], v[72:73], v[14:15]
	v_mov_b32_e32 v77, v75
	v_accvgpr_read_b32 v13, a21
	v_pk_add_f32 v[14:15], v[76:77], v[14:15]
	v_mov_b32_e32 v81, v79
	v_accvgpr_read_b32 v249, a3
	v_pk_fma_f32 v[12:13], v[46:47], s[6:7], v[12:13] neg_lo:[0,0,1] neg_hi:[0,0,1]
	v_pk_add_f32 v[14:15], v[80:81], v[14:15]
	v_mov_b32_e32 v85, v83
	v_pk_add_f32 v[8:9], v[8:9], v[248:249]
	v_accvgpr_read_b32 v245, a5
	v_mov_b32_e32 v13, v51
	v_pk_add_f32 v[14:15], v[84:85], v[14:15]
	v_pk_add_f32 v[8:9], v[244:245], v[8:9]
	v_accvgpr_read_b32 v241, a7
	v_pk_add_f32 v[12:13], v[12:13], v[14:15]
	v_pk_add_f32 v[8:9], v[240:241], v[8:9]
	v_accvgpr_read_b32 v237, a9
	ds_write2_b64 v225, v[10:11], v[12:13] offset0:14 offset1:15
	v_pk_add_f32 v[8:9], v[236:237], v[8:9]
	v_accvgpr_read_b32 v233, a11
	v_accvgpr_read_b32 v10, a18
	v_pk_add_f32 v[8:9], v[232:233], v[8:9]
	v_accvgpr_read_b32 v227, a13
	v_accvgpr_read_b32 v11, a19
	v_pk_add_f32 v[8:9], v[226:227], v[8:9]
	v_accvgpr_read_b32 v51, a15
	v_pk_fma_f32 v[10:11], v[46:47], s[10:11], v[10:11] neg_lo:[0,0,1] neg_hi:[0,0,1]
	v_pk_add_f32 v[8:9], v[50:51], v[8:9]
	v_accvgpr_read_b32 v11, a17
	v_pk_add_f32 v[8:9], v[10:11], v[8:9]
	v_mov_b32_e32 v56, v44
	ds_write_b64 v225, v[8:9] offset:128
	v_accvgpr_read_b32 v225, a0
.LBB0_13:
	s_or_b64 exec, exec, s[4:5]
	s_waitcnt lgkmcnt(0)
	s_barrier
	ds_read2_b64 v[8:11], v213 offset1:17
	ds_read2_b64 v[12:15], v213 offset0:34 offset1:51
	ds_read_b64 v[24:25], v213 offset:544
	s_mov_b32 s4, 0x3f737871
	s_mov_b32 s6, 0x3f167918
	s_waitcnt lgkmcnt(2)
	v_pk_mul_f32 v[4:5], v[4:5], v[10:11]
	s_waitcnt lgkmcnt(1)
	v_pk_mul_f32 v[0:1], v[0:1], v[14:15]
	v_pk_fma_f32 v[26:27], v[22:23], v[10:11], v[4:5] op_sel:[0,0,1] op_sel_hi:[1,1,0]
	v_pk_fma_f32 v[4:5], v[22:23], v[10:11], v[4:5] op_sel:[0,0,1] op_sel_hi:[1,1,0] neg_lo:[0,0,1] neg_hi:[0,0,1]
	s_mov_b32 s10, 0x3e9e377a
	v_mov_b32_e32 v27, v5
	v_pk_mul_f32 v[4:5], v[6:7], v[12:13]
	s_nop 0
	v_pk_fma_f32 v[6:7], v[20:21], v[12:13], v[4:5] op_sel:[0,0,1] op_sel_hi:[1,1,0]
	v_pk_fma_f32 v[4:5], v[20:21], v[12:13], v[4:5] op_sel:[0,0,1] op_sel_hi:[1,1,0] neg_lo:[0,0,1] neg_hi:[0,0,1]
	s_nop 0
	v_mov_b32_e32 v7, v5
	v_pk_fma_f32 v[4:5], v[18:19], v[14:15], v[0:1] op_sel:[0,0,1] op_sel_hi:[1,1,0]
	v_pk_fma_f32 v[0:1], v[18:19], v[14:15], v[0:1] op_sel:[0,0,1] op_sel_hi:[1,1,0] neg_lo:[0,0,1] neg_hi:[0,0,1]
	v_pk_add_f32 v[20:21], v[26:27], v[6:7] neg_lo:[0,1] neg_hi:[0,1]
	v_mov_b32_e32 v5, v1
	s_waitcnt lgkmcnt(0)
	v_pk_mul_f32 v[0:1], v[2:3], v[24:25]
	v_pk_add_f32 v[10:11], v[6:7], v[4:5]
	v_pk_fma_f32 v[2:3], v[16:17], v[24:25], v[0:1] op_sel:[0,0,1] op_sel_hi:[1,1,0]
	v_pk_fma_f32 v[0:1], v[16:17], v[24:25], v[0:1] op_sel:[0,0,1] op_sel_hi:[1,1,0] neg_lo:[0,0,1] neg_hi:[0,0,1]
	v_pk_fma_f32 v[10:11], v[10:11], 0.5, v[8:9] op_sel_hi:[1,0,1] neg_lo:[1,0,0] neg_hi:[1,0,0]
	v_mov_b32_e32 v3, v1
	v_pk_add_f32 v[12:13], v[26:27], v[2:3] neg_lo:[0,1] neg_hi:[0,1]
	v_pk_add_f32 v[16:17], v[6:7], v[4:5] neg_lo:[0,1] neg_hi:[0,1]
	v_pk_mul_f32 v[14:15], v[12:13], s[4:5] op_sel_hi:[1,0]
	v_pk_add_f32 v[22:23], v[2:3], v[4:5] neg_lo:[0,1] neg_hi:[0,1]
	v_pk_add_f32 v[0:1], v[8:9], v[26:27]
	v_pk_mul_f32 v[18:19], v[16:17], s[6:7] op_sel_hi:[1,0]
	v_pk_add_f32 v[20:21], v[20:21], v[22:23]
	v_pk_add_f32 v[22:23], v[10:11], v[14:15] op_sel:[0,1] op_sel_hi:[1,0] neg_lo:[0,1] neg_hi:[0,1]
	v_pk_add_f32 v[10:11], v[10:11], v[14:15] op_sel:[0,1] op_sel_hi:[1,0]
	v_pk_add_f32 v[0:1], v[0:1], v[6:7]
	v_pk_add_f32 v[10:11], v[10:11], v[18:19] op_sel:[0,1] op_sel_hi:[1,0]
	v_pk_add_f32 v[14:15], v[22:23], v[18:19] op_sel:[0,1] op_sel_hi:[1,0] neg_lo:[0,1] neg_hi:[0,1]
	v_pk_add_f32 v[0:1], v[0:1], v[4:5]
	v_mov_b32_e32 v18, v14
	v_mov_b32_e32 v19, v11
	v_pk_add_f32 v[0:1], v[0:1], v[2:3]
	v_pk_fma_f32 v[18:19], v[20:21], s[10:11], v[18:19] op_sel_hi:[1,0,1]
	ds_write2_b64 v212, v[0:1], v[18:19] offset1:17
	v_pk_add_f32 v[0:1], v[26:27], v[2:3]
	v_pk_add_f32 v[6:7], v[6:7], v[26:27] neg_lo:[0,1] neg_hi:[0,1]
	v_pk_fma_f32 v[0:1], v[0:1], 0.5, v[8:9] op_sel_hi:[1,0,1] neg_lo:[1,0,0] neg_hi:[1,0,0]
	v_pk_add_f32 v[2:3], v[4:5], v[2:3] neg_lo:[0,1] neg_hi:[0,1]
	v_pk_mul_f32 v[4:5], v[16:17], s[4:5] op_sel_hi:[1,0]
	v_pk_add_f32 v[2:3], v[6:7], v[2:3]
	v_pk_mul_f32 v[6:7], v[12:13], s[6:7] op_sel_hi:[1,0]
	v_pk_add_f32 v[8:9], v[0:1], v[4:5] op_sel:[0,1] op_sel_hi:[1,0]
	v_pk_add_f32 v[0:1], v[0:1], v[4:5] op_sel:[0,1] op_sel_hi:[1,0] neg_lo:[0,1] neg_hi:[0,1]
	v_pk_add_f32 v[4:5], v[8:9], v[6:7] op_sel:[0,1] op_sel_hi:[1,0] neg_lo:[0,1] neg_hi:[0,1]
	v_pk_add_f32 v[0:1], v[0:1], v[6:7] op_sel:[0,1] op_sel_hi:[1,0]
	v_mov_b32_e32 v6, v4
	v_mov_b32_e32 v7, v1
	;; [unrolled: 1-line block ×3, first 2 shown]
	v_pk_fma_f32 v[6:7], v[2:3], s[10:11], v[6:7] op_sel_hi:[1,0,1]
	v_pk_fma_f32 v[0:1], v[2:3], s[10:11], v[0:1] op_sel_hi:[1,0,1]
	v_mov_b32_e32 v11, v15
	ds_write2_b64 v212, v[6:7], v[0:1] offset0:34 offset1:51
	v_pk_fma_f32 v[0:1], v[20:21], s[10:11], v[10:11] op_sel_hi:[1,0,1]
	s_and_b64 s[4:5], exec, vcc
	v_accvgpr_read_b32 v14, a2
	ds_write_b64 v212, v[0:1] offset:544
	s_waitcnt lgkmcnt(0)
	s_barrier
	s_mov_b64 exec, s[4:5]
	s_cbranch_execz .LBB0_15
; %bb.14:
	global_load_dwordx2 v[2:3], v224, s[8:9]
	ds_read_b64 v[6:7], v212
	v_mad_u64_u32 v[4:5], s[4:5], s2, v14, 0
	v_mov_b32_e32 v10, v5
	v_mad_u64_u32 v[10:11], s[2:3], s3, v14, v[10:11]
	v_mov_b32_e32 v0, s12
	v_mov_b32_e32 v1, s13
	;; [unrolled: 1-line block ×3, first 2 shown]
	v_mad_u64_u32 v[8:9], s[6:7], s0, v225, 0
	v_lshl_add_u64 v[0:1], v[4:5], 3, v[0:1]
	s_mov_b32 s4, 0x18181818
	v_mov_b32_e32 v12, v9
	s_mov_b32 s5, 0x3f881818
	v_mad_u64_u32 v[12:13], s[2:3], s1, v225, v[12:13]
	v_mov_b32_e32 v9, v12
	v_lshl_add_u64 v[8:9], v[8:9], 3, v[0:1]
	v_lshl_add_u32 v12, v56, 3, v224
	s_mul_i32 s2, s1, 40
	v_accvgpr_read_b32 v11, a1
	s_mul_i32 s3, s1, 0x50
	s_waitcnt vmcnt(0) lgkmcnt(0)
	v_mul_f32_e32 v4, v7, v3
	v_mul_f32_e32 v3, v6, v3
	v_fmac_f32_e32 v4, v6, v2
	v_fma_f32 v5, v2, v7, -v3
	v_cvt_f64_f32_e32 v[2:3], v4
	v_cvt_f64_f32_e32 v[4:5], v5
	v_mul_f64 v[2:3], v[2:3], s[4:5]
	v_mul_f64 v[4:5], v[4:5], s[4:5]
	v_cvt_f32_f64_e32 v2, v[2:3]
	v_cvt_f32_f64_e32 v3, v[4:5]
	global_store_dwordx2 v[8:9], v[2:3], off
	global_load_dwordx2 v[6:7], v224, s[8:9] offset:40
	ds_read2_b64 v[2:5], v12 offset0:5 offset1:10
	v_mad_u64_u32 v[8:9], s[6:7], s0, 40, v[8:9]
	v_add_u32_e32 v9, s2, v9
	s_waitcnt vmcnt(0) lgkmcnt(0)
	v_mul_f32_e32 v10, v3, v7
	v_mul_f32_e32 v7, v2, v7
	v_fmac_f32_e32 v10, v2, v6
	v_fma_f32 v6, v6, v3, -v7
	v_cvt_f64_f32_e32 v[2:3], v10
	v_cvt_f64_f32_e32 v[6:7], v6
	v_mul_f64 v[2:3], v[2:3], s[4:5]
	v_mul_f64 v[6:7], v[6:7], s[4:5]
	v_cvt_f32_f64_e32 v2, v[2:3]
	v_cvt_f32_f64_e32 v3, v[6:7]
	global_store_dwordx2 v[8:9], v[2:3], off
	global_load_dwordx2 v[2:3], v224, s[8:9] offset:80
	v_mad_u64_u32 v[6:7], s[6:7], s0, 40, v[8:9]
	v_add_u32_e32 v7, s2, v7
	s_waitcnt vmcnt(0)
	v_mul_f32_e32 v8, v5, v3
	v_mul_f32_e32 v3, v4, v3
	v_fmac_f32_e32 v8, v4, v2
	v_fma_f32 v4, v2, v5, -v3
	v_cvt_f64_f32_e32 v[2:3], v8
	v_cvt_f64_f32_e32 v[4:5], v4
	v_mul_f64 v[2:3], v[2:3], s[4:5]
	v_mul_f64 v[4:5], v[4:5], s[4:5]
	v_cvt_f32_f64_e32 v2, v[2:3]
	v_cvt_f32_f64_e32 v3, v[4:5]
	global_store_dwordx2 v[6:7], v[2:3], off
	global_load_dwordx2 v[8:9], v224, s[8:9] offset:120
	ds_read2_b64 v[2:5], v12 offset0:15 offset1:20
	v_mad_u64_u32 v[6:7], s[6:7], s0, 40, v[6:7]
	v_add_u32_e32 v7, s2, v7
	s_waitcnt vmcnt(0) lgkmcnt(0)
	v_mul_f32_e32 v10, v3, v9
	v_mul_f32_e32 v9, v2, v9
	v_fmac_f32_e32 v10, v2, v8
	v_fma_f32 v8, v8, v3, -v9
	v_cvt_f64_f32_e32 v[2:3], v10
	v_cvt_f64_f32_e32 v[8:9], v8
	v_mul_f64 v[2:3], v[2:3], s[4:5]
	v_mul_f64 v[8:9], v[8:9], s[4:5]
	v_cvt_f32_f64_e32 v2, v[2:3]
	v_cvt_f32_f64_e32 v3, v[8:9]
	global_store_dwordx2 v[6:7], v[2:3], off
	global_load_dwordx2 v[2:3], v224, s[8:9] offset:160
	v_mad_u64_u32 v[6:7], s[6:7], s0, 40, v[6:7]
	v_add_u32_e32 v7, s2, v7
	s_waitcnt vmcnt(0)
	;; [unrolled: 31-line block ×3, first 2 shown]
	v_mul_f32_e32 v8, v5, v3
	v_mul_f32_e32 v3, v4, v3
	v_fmac_f32_e32 v8, v4, v2
	v_fma_f32 v4, v2, v5, -v3
	v_cvt_f64_f32_e32 v[2:3], v8
	v_cvt_f64_f32_e32 v[4:5], v4
	v_mul_f64 v[2:3], v[2:3], s[4:5]
	v_mul_f64 v[4:5], v[4:5], s[4:5]
	v_cvt_f32_f64_e32 v2, v[2:3]
	v_cvt_f32_f64_e32 v3, v[4:5]
	global_store_dwordx2 v[6:7], v[2:3], off
	global_load_dwordx2 v[8:9], v224, s[8:9] offset:280
	ds_read2_b64 v[2:5], v12 offset0:35 offset1:40
	v_mad_u64_u32 v[6:7], s[6:7], s0, 40, v[6:7]
	v_add_u32_e32 v7, s2, v7
	s_waitcnt vmcnt(0) lgkmcnt(0)
	v_mul_f32_e32 v10, v3, v9
	v_mul_f32_e32 v9, v2, v9
	v_fmac_f32_e32 v10, v2, v8
	v_fma_f32 v8, v8, v3, -v9
	v_cvt_f64_f32_e32 v[2:3], v10
	v_cvt_f64_f32_e32 v[8:9], v8
	v_mul_f64 v[2:3], v[2:3], s[4:5]
	v_mul_f64 v[8:9], v[8:9], s[4:5]
	v_cvt_f32_f64_e32 v2, v[2:3]
	v_cvt_f32_f64_e32 v3, v[8:9]
	global_store_dwordx2 v[6:7], v[2:3], off
	global_load_dwordx2 v[2:3], v224, s[8:9] offset:320
	v_mad_u64_u32 v[8:9], s[6:7], s0, v11, 0
	v_mov_b32_e32 v10, v9
	v_mad_u64_u32 v[10:11], s[6:7], s1, v11, v[10:11]
	v_mov_b32_e32 v9, v10
	v_lshl_add_u64 v[8:9], v[8:9], 3, v[0:1]
	s_waitcnt vmcnt(0)
	v_mul_f32_e32 v10, v5, v3
	v_mul_f32_e32 v3, v4, v3
	v_fmac_f32_e32 v10, v4, v2
	v_fma_f32 v4, v2, v5, -v3
	v_cvt_f64_f32_e32 v[2:3], v10
	v_cvt_f64_f32_e32 v[4:5], v4
	v_mul_f64 v[2:3], v[2:3], s[4:5]
	v_mul_f64 v[4:5], v[4:5], s[4:5]
	v_cvt_f32_f64_e32 v2, v[2:3]
	v_cvt_f32_f64_e32 v3, v[4:5]
	global_store_dwordx2 v[8:9], v[2:3], off
	global_load_dwordx2 v[8:9], v224, s[8:9] offset:360
	ds_read2_b64 v[2:5], v12 offset0:45 offset1:50
	v_mov_b32_e32 v10, 0x50
	v_mad_u64_u32 v[6:7], s[6:7], s0, v10, v[6:7]
	v_add_u32_e32 v7, s3, v7
	s_waitcnt vmcnt(0) lgkmcnt(0)
	v_mul_f32_e32 v10, v3, v9
	v_mul_f32_e32 v9, v2, v9
	v_fmac_f32_e32 v10, v2, v8
	v_fma_f32 v8, v8, v3, -v9
	v_cvt_f64_f32_e32 v[2:3], v10
	v_cvt_f64_f32_e32 v[8:9], v8
	v_mul_f64 v[2:3], v[2:3], s[4:5]
	v_mul_f64 v[8:9], v[8:9], s[4:5]
	v_cvt_f32_f64_e32 v2, v[2:3]
	v_cvt_f32_f64_e32 v3, v[8:9]
	global_store_dwordx2 v[6:7], v[2:3], off
	global_load_dwordx2 v[2:3], v224, s[8:9] offset:400
	v_mad_u64_u32 v[6:7], s[6:7], s0, 40, v[6:7]
	v_add_u32_e32 v7, s2, v7
	s_waitcnt vmcnt(0)
	v_mul_f32_e32 v8, v5, v3
	v_mul_f32_e32 v3, v4, v3
	v_fmac_f32_e32 v8, v4, v2
	v_fma_f32 v4, v2, v5, -v3
	v_cvt_f64_f32_e32 v[2:3], v8
	v_cvt_f64_f32_e32 v[4:5], v4
	v_mul_f64 v[2:3], v[2:3], s[4:5]
	v_mul_f64 v[4:5], v[4:5], s[4:5]
	v_cvt_f32_f64_e32 v2, v[2:3]
	v_cvt_f32_f64_e32 v3, v[4:5]
	global_store_dwordx2 v[6:7], v[2:3], off
	global_load_dwordx2 v[8:9], v224, s[8:9] offset:440
	ds_read2_b64 v[2:5], v12 offset0:55 offset1:60
	v_mad_u64_u32 v[6:7], s[6:7], s0, 40, v[6:7]
	v_add_u32_e32 v7, s2, v7
	s_waitcnt vmcnt(0) lgkmcnt(0)
	v_mul_f32_e32 v10, v3, v9
	v_mul_f32_e32 v9, v2, v9
	v_fmac_f32_e32 v10, v2, v8
	v_fma_f32 v8, v8, v3, -v9
	v_cvt_f64_f32_e32 v[2:3], v10
	v_cvt_f64_f32_e32 v[8:9], v8
	v_mul_f64 v[2:3], v[2:3], s[4:5]
	v_mul_f64 v[8:9], v[8:9], s[4:5]
	v_cvt_f32_f64_e32 v2, v[2:3]
	v_cvt_f32_f64_e32 v3, v[8:9]
	global_store_dwordx2 v[6:7], v[2:3], off
	global_load_dwordx2 v[2:3], v224, s[8:9] offset:480
	v_mad_u64_u32 v[6:7], s[6:7], s0, 40, v[6:7]
	v_add_u32_e32 v7, s2, v7
	s_waitcnt vmcnt(0)
	v_mul_f32_e32 v8, v5, v3
	v_mul_f32_e32 v3, v4, v3
	v_fmac_f32_e32 v8, v4, v2
	v_fma_f32 v4, v2, v5, -v3
	v_cvt_f64_f32_e32 v[2:3], v8
	v_cvt_f64_f32_e32 v[4:5], v4
	v_mul_f64 v[2:3], v[2:3], s[4:5]
	v_mul_f64 v[4:5], v[4:5], s[4:5]
	v_cvt_f32_f64_e32 v2, v[2:3]
	v_cvt_f32_f64_e32 v3, v[4:5]
	global_store_dwordx2 v[6:7], v[2:3], off
	global_load_dwordx2 v[8:9], v224, s[8:9] offset:520
	ds_read2_b64 v[2:5], v12 offset0:65 offset1:70
	;; [unrolled: 31-line block ×3, first 2 shown]
	v_mad_u64_u32 v[6:7], s[6:7], s0, 40, v[6:7]
	v_add_u32_e32 v7, s2, v7
	s_waitcnt vmcnt(0) lgkmcnt(0)
	v_mul_f32_e32 v10, v3, v9
	v_mul_f32_e32 v9, v2, v9
	v_fmac_f32_e32 v10, v2, v8
	v_fma_f32 v8, v8, v3, -v9
	v_cvt_f64_f32_e32 v[2:3], v10
	v_cvt_f64_f32_e32 v[8:9], v8
	v_mul_f64 v[2:3], v[2:3], s[4:5]
	v_mul_f64 v[8:9], v[8:9], s[4:5]
	v_cvt_f32_f64_e32 v2, v[2:3]
	v_cvt_f32_f64_e32 v3, v[8:9]
	global_store_dwordx2 v[6:7], v[2:3], off
	global_load_dwordx2 v[2:3], v224, s[8:9] offset:640
	v_or_b32_e32 v9, 0x50, v225
	v_mad_u64_u32 v[6:7], s[2:3], s0, v9, 0
	v_mov_b32_e32 v8, v7
	v_mad_u64_u32 v[8:9], s[0:1], s1, v9, v[8:9]
	v_mov_b32_e32 v7, v8
	v_lshl_add_u64 v[0:1], v[6:7], 3, v[0:1]
	s_waitcnt vmcnt(0)
	v_mul_f32_e32 v8, v5, v3
	v_mul_f32_e32 v3, v4, v3
	v_fmac_f32_e32 v8, v4, v2
	v_fma_f32 v4, v2, v5, -v3
	v_cvt_f64_f32_e32 v[2:3], v8
	v_cvt_f64_f32_e32 v[4:5], v4
	v_mul_f64 v[2:3], v[2:3], s[4:5]
	v_mul_f64 v[4:5], v[4:5], s[4:5]
	v_cvt_f32_f64_e32 v2, v[2:3]
	v_cvt_f32_f64_e32 v3, v[4:5]
	global_store_dwordx2 v[0:1], v[2:3], off
.LBB0_15:
	s_endpgm
	.section	.rodata,"a",@progbits
	.p2align	6, 0x0
	.amdhsa_kernel bluestein_single_fwd_len85_dim1_sp_op_CI_CI
		.amdhsa_group_segment_fixed_size 10200
		.amdhsa_private_segment_fixed_size 0
		.amdhsa_kernarg_size 104
		.amdhsa_user_sgpr_count 2
		.amdhsa_user_sgpr_dispatch_ptr 0
		.amdhsa_user_sgpr_queue_ptr 0
		.amdhsa_user_sgpr_kernarg_segment_ptr 1
		.amdhsa_user_sgpr_dispatch_id 0
		.amdhsa_user_sgpr_kernarg_preload_length 0
		.amdhsa_user_sgpr_kernarg_preload_offset 0
		.amdhsa_user_sgpr_private_segment_size 0
		.amdhsa_uses_dynamic_stack 0
		.amdhsa_enable_private_segment 0
		.amdhsa_system_sgpr_workgroup_id_x 1
		.amdhsa_system_sgpr_workgroup_id_y 0
		.amdhsa_system_sgpr_workgroup_id_z 0
		.amdhsa_system_sgpr_workgroup_info 0
		.amdhsa_system_vgpr_workitem_id 0
		.amdhsa_next_free_vgpr 282
		.amdhsa_next_free_sgpr 60
		.amdhsa_accum_offset 256
		.amdhsa_reserve_vcc 1
		.amdhsa_float_round_mode_32 0
		.amdhsa_float_round_mode_16_64 0
		.amdhsa_float_denorm_mode_32 3
		.amdhsa_float_denorm_mode_16_64 3
		.amdhsa_dx10_clamp 1
		.amdhsa_ieee_mode 1
		.amdhsa_fp16_overflow 0
		.amdhsa_tg_split 0
		.amdhsa_exception_fp_ieee_invalid_op 0
		.amdhsa_exception_fp_denorm_src 0
		.amdhsa_exception_fp_ieee_div_zero 0
		.amdhsa_exception_fp_ieee_overflow 0
		.amdhsa_exception_fp_ieee_underflow 0
		.amdhsa_exception_fp_ieee_inexact 0
		.amdhsa_exception_int_div_zero 0
	.end_amdhsa_kernel
	.text
.Lfunc_end0:
	.size	bluestein_single_fwd_len85_dim1_sp_op_CI_CI, .Lfunc_end0-bluestein_single_fwd_len85_dim1_sp_op_CI_CI
                                        ; -- End function
	.section	.AMDGPU.csdata,"",@progbits
; Kernel info:
; codeLenInByte = 13612
; NumSgprs: 66
; NumVgprs: 256
; NumAgprs: 26
; TotalNumVgprs: 282
; ScratchSize: 0
; MemoryBound: 0
; FloatMode: 240
; IeeeMode: 1
; LDSByteSize: 10200 bytes/workgroup (compile time only)
; SGPRBlocks: 8
; VGPRBlocks: 35
; NumSGPRsForWavesPerEU: 66
; NumVGPRsForWavesPerEU: 282
; AccumOffset: 256
; Occupancy: 1
; WaveLimiterHint : 1
; COMPUTE_PGM_RSRC2:SCRATCH_EN: 0
; COMPUTE_PGM_RSRC2:USER_SGPR: 2
; COMPUTE_PGM_RSRC2:TRAP_HANDLER: 0
; COMPUTE_PGM_RSRC2:TGID_X_EN: 1
; COMPUTE_PGM_RSRC2:TGID_Y_EN: 0
; COMPUTE_PGM_RSRC2:TGID_Z_EN: 0
; COMPUTE_PGM_RSRC2:TIDIG_COMP_CNT: 0
; COMPUTE_PGM_RSRC3_GFX90A:ACCUM_OFFSET: 63
; COMPUTE_PGM_RSRC3_GFX90A:TG_SPLIT: 0
	.text
	.p2alignl 6, 3212836864
	.fill 256, 4, 3212836864
	.type	__hip_cuid_6e52a6e9076c8085,@object ; @__hip_cuid_6e52a6e9076c8085
	.section	.bss,"aw",@nobits
	.globl	__hip_cuid_6e52a6e9076c8085
__hip_cuid_6e52a6e9076c8085:
	.byte	0                               ; 0x0
	.size	__hip_cuid_6e52a6e9076c8085, 1

	.ident	"AMD clang version 19.0.0git (https://github.com/RadeonOpenCompute/llvm-project roc-6.4.0 25133 c7fe45cf4b819c5991fe208aaa96edf142730f1d)"
	.section	".note.GNU-stack","",@progbits
	.addrsig
	.addrsig_sym __hip_cuid_6e52a6e9076c8085
	.amdgpu_metadata
---
amdhsa.kernels:
  - .agpr_count:     26
    .args:
      - .actual_access:  read_only
        .address_space:  global
        .offset:         0
        .size:           8
        .value_kind:     global_buffer
      - .actual_access:  read_only
        .address_space:  global
        .offset:         8
        .size:           8
        .value_kind:     global_buffer
      - .actual_access:  read_only
        .address_space:  global
        .offset:         16
        .size:           8
        .value_kind:     global_buffer
      - .actual_access:  read_only
        .address_space:  global
        .offset:         24
        .size:           8
        .value_kind:     global_buffer
      - .actual_access:  read_only
        .address_space:  global
        .offset:         32
        .size:           8
        .value_kind:     global_buffer
      - .offset:         40
        .size:           8
        .value_kind:     by_value
      - .address_space:  global
        .offset:         48
        .size:           8
        .value_kind:     global_buffer
      - .address_space:  global
        .offset:         56
        .size:           8
        .value_kind:     global_buffer
      - .address_space:  global
        .offset:         64
        .size:           8
        .value_kind:     global_buffer
      - .address_space:  global
        .offset:         72
        .size:           8
        .value_kind:     global_buffer
      - .offset:         80
        .size:           4
        .value_kind:     by_value
      - .address_space:  global
        .offset:         88
        .size:           8
        .value_kind:     global_buffer
      - .address_space:  global
        .offset:         96
        .size:           8
        .value_kind:     global_buffer
    .group_segment_fixed_size: 10200
    .kernarg_segment_align: 8
    .kernarg_segment_size: 104
    .language:       OpenCL C
    .language_version:
      - 2
      - 0
    .max_flat_workgroup_size: 255
    .name:           bluestein_single_fwd_len85_dim1_sp_op_CI_CI
    .private_segment_fixed_size: 0
    .sgpr_count:     66
    .sgpr_spill_count: 0
    .symbol:         bluestein_single_fwd_len85_dim1_sp_op_CI_CI.kd
    .uniform_work_group_size: 1
    .uses_dynamic_stack: false
    .vgpr_count:     282
    .vgpr_spill_count: 0
    .wavefront_size: 64
amdhsa.target:   amdgcn-amd-amdhsa--gfx950
amdhsa.version:
  - 1
  - 2
...

	.end_amdgpu_metadata
